;; amdgpu-corpus repo=ROCm/rocFFT kind=compiled arch=gfx1201 opt=O3
	.text
	.amdgcn_target "amdgcn-amd-amdhsa--gfx1201"
	.amdhsa_code_object_version 6
	.protected	bluestein_single_fwd_len1122_dim1_dp_op_CI_CI ; -- Begin function bluestein_single_fwd_len1122_dim1_dp_op_CI_CI
	.globl	bluestein_single_fwd_len1122_dim1_dp_op_CI_CI
	.p2align	8
	.type	bluestein_single_fwd_len1122_dim1_dp_op_CI_CI,@function
bluestein_single_fwd_len1122_dim1_dp_op_CI_CI: ; @bluestein_single_fwd_len1122_dim1_dp_op_CI_CI
; %bb.0:
	s_load_b128 s[8:11], s[0:1], 0x28
	v_mul_u32_u24_e32 v1, 0x283, v0
	v_mov_b32_e32 v4, 0
	s_mov_b32 s2, exec_lo
	s_delay_alu instid0(VALU_DEP_2) | instskip(NEXT) | instid1(VALU_DEP_1)
	v_lshrrev_b32_e32 v1, 16, v1
	v_lshl_add_u32 v3, ttmp9, 1, v1
	s_delay_alu instid0(VALU_DEP_1)
	v_mov_b32_e32 v2, v3
	scratch_store_b64 off, v[2:3], off offset:4 ; 8-byte Folded Spill
	s_wait_kmcnt 0x0
	v_cmpx_gt_u64_e64 s[8:9], v[3:4]
	s_cbranch_execz .LBB0_23
; %bb.1:
	v_mul_lo_u16 v2, 0x66, v1
	s_clause 0x1
	s_load_b64 s[8:9], s[0:1], 0x0
	s_load_b64 s[12:13], s[0:1], 0x38
	v_and_b32_e32 v1, 1, v1
	v_sub_nc_u16 v0, v0, v2
	s_delay_alu instid0(VALU_DEP_2) | instskip(NEXT) | instid1(VALU_DEP_2)
	v_cmp_eq_u32_e32 vcc_lo, 1, v1
	v_and_b32_e32 v2, 0xffff, v0
	v_cndmask_b32_e64 v162, 0, 0x462, vcc_lo
	v_cmp_gt_u16_e32 vcc_lo, 0x42, v0
	s_delay_alu instid0(VALU_DEP_3) | instskip(NEXT) | instid1(VALU_DEP_3)
	v_lshlrev_b32_e32 v255, 4, v2
	v_lshlrev_b32_e32 v0, 4, v162
	s_clause 0x1
	scratch_store_b32 off, v2, off
	scratch_store_b32 off, v0, off offset:12
	s_and_saveexec_b32 s3, vcc_lo
	s_cbranch_execz .LBB0_3
; %bb.2:
	s_clause 0x1
	scratch_load_b64 v[0:1], off, off offset:4
	scratch_load_b32 v173, off, off
	s_load_b64 s[4:5], s[0:1], 0x18
	s_wait_kmcnt 0x0
	s_load_b128 s[4:7], s[4:5], 0x0
	s_wait_loadcnt 0x0
	s_wait_kmcnt 0x0
	v_mad_co_u64_u32 v[32:33], null, s4, v173, 0
	s_delay_alu instid0(VALU_DEP_1) | instskip(NEXT) | instid1(VALU_DEP_1)
	v_dual_mov_b32 v2, v0 :: v_dual_mov_b32 v1, v33
	v_mad_co_u64_u32 v[16:17], null, s6, v2, 0
	s_delay_alu instid0(VALU_DEP_1) | instskip(NEXT) | instid1(VALU_DEP_1)
	v_mov_b32_e32 v0, v17
	v_mad_co_u64_u32 v[2:3], null, s7, v2, v[0:1]
	s_delay_alu instid0(VALU_DEP_1)
	v_mov_b32_e32 v17, v2
	v_mad_co_u64_u32 v[18:19], null, s5, v173, v[1:2]
	s_mul_u64 s[4:5], s[4:5], 0x420
	s_clause 0x3
	global_load_b128 v[0:3], v255, s[8:9]
	global_load_b128 v[4:7], v255, s[8:9] offset:1056
	global_load_b128 v[8:11], v255, s[8:9] offset:2112
	;; [unrolled: 1-line block ×3, first 2 shown]
	v_lshlrev_b64_e32 v[34:35], 4, v[16:17]
	v_mov_b32_e32 v33, v18
	s_clause 0x3
	global_load_b128 v[16:19], v255, s[8:9] offset:4224
	global_load_b128 v[20:23], v255, s[8:9] offset:5280
	;; [unrolled: 1-line block ×4, first 2 shown]
	v_add_co_u32 v42, s2, s10, v34
	s_delay_alu instid0(VALU_DEP_1)
	v_add_co_ci_u32_e64 v43, s2, s11, v35, s2
	v_lshlrev_b64_e32 v[40:41], 4, v[32:33]
	s_clause 0x1
	global_load_b128 v[32:35], v255, s[8:9] offset:8448
	global_load_b128 v[36:39], v255, s[8:9] offset:9504
	v_add_co_u32 v56, s2, v42, v40
	s_wait_alu 0xf1ff
	v_add_co_ci_u32_e64 v57, s2, v43, v41, s2
	s_clause 0x1
	global_load_b128 v[40:43], v255, s[8:9] offset:10560
	global_load_b128 v[44:47], v255, s[8:9] offset:11616
	s_wait_alu 0xfffe
	v_add_co_u32 v60, s2, v56, s4
	s_wait_alu 0xf1ff
	v_add_co_ci_u32_e64 v61, s2, s5, v57, s2
	s_clause 0x1
	global_load_b128 v[48:51], v255, s[8:9] offset:12672
	global_load_b128 v[52:55], v255, s[8:9] offset:13728
	v_add_co_u32 v64, s2, v60, s4
	s_wait_alu 0xf1ff
	v_add_co_ci_u32_e64 v65, s2, s5, v61, s2
	s_clause 0x1
	global_load_b128 v[56:59], v[56:57], off
	global_load_b128 v[60:63], v[60:61], off
	v_add_co_u32 v68, s2, v64, s4
	s_wait_alu 0xf1ff
	v_add_co_ci_u32_e64 v69, s2, s5, v65, s2
	s_delay_alu instid0(VALU_DEP_2) | instskip(SKIP_1) | instid1(VALU_DEP_2)
	v_add_co_u32 v72, s2, v68, s4
	s_wait_alu 0xf1ff
	v_add_co_ci_u32_e64 v73, s2, s5, v69, s2
	s_clause 0x1
	global_load_b128 v[64:67], v[64:65], off
	global_load_b128 v[68:71], v[68:69], off
	v_add_co_u32 v76, s2, v72, s4
	s_wait_alu 0xf1ff
	v_add_co_ci_u32_e64 v77, s2, s5, v73, s2
	global_load_b128 v[72:75], v[72:73], off
	v_add_co_u32 v80, s2, v76, s4
	s_wait_alu 0xf1ff
	v_add_co_ci_u32_e64 v81, s2, s5, v77, s2
	;; [unrolled: 4-line block ×12, first 2 shown]
	s_clause 0x1
	global_load_b128 v[116:119], v255, s[8:9] offset:14784
	global_load_b128 v[120:123], v255, s[8:9] offset:15840
	global_load_b128 v[124:127], v[124:125], off
	global_load_b128 v[128:131], v255, s[8:9] offset:16896
	global_load_b128 v[132:135], v[132:133], off
	s_wait_loadcnt 0x13
	v_mul_f64_e32 v[136:137], v[58:59], v[2:3]
	v_mul_f64_e32 v[2:3], v[56:57], v[2:3]
	s_wait_loadcnt 0x12
	v_mul_f64_e32 v[138:139], v[62:63], v[6:7]
	v_mul_f64_e32 v[6:7], v[60:61], v[6:7]
	;; [unrolled: 3-line block ×14, first 2 shown]
	v_fma_f64 v[54:55], v[56:57], v[0:1], v[136:137]
	v_fma_f64 v[56:57], v[58:59], v[0:1], -v[2:3]
	v_fma_f64 v[0:1], v[60:61], v[4:5], v[138:139]
	v_fma_f64 v[2:3], v[62:63], v[4:5], -v[6:7]
	s_wait_loadcnt 0x4
	v_mul_f64_e32 v[167:168], v[114:115], v[118:119]
	v_mul_f64_e32 v[118:119], v[112:113], v[118:119]
	s_wait_loadcnt 0x2
	v_mul_f64_e32 v[169:170], v[126:127], v[122:123]
	v_mul_f64_e32 v[122:123], v[124:125], v[122:123]
	;; [unrolled: 3-line block ×3, first 2 shown]
	v_fma_f64 v[4:5], v[64:65], v[8:9], v[140:141]
	v_fma_f64 v[6:7], v[66:67], v[8:9], -v[10:11]
	v_fma_f64 v[8:9], v[68:69], v[12:13], v[142:143]
	v_fma_f64 v[10:11], v[70:71], v[12:13], -v[14:15]
	;; [unrolled: 2-line block ×12, first 2 shown]
	v_lshlrev_b32_e32 v53, 4, v162
	v_fma_f64 v[58:59], v[112:113], v[116:117], v[167:168]
	v_fma_f64 v[60:61], v[114:115], v[116:117], -v[118:119]
	v_fma_f64 v[62:63], v[124:125], v[120:121], v[169:170]
	v_fma_f64 v[64:65], v[126:127], v[120:121], -v[122:123]
	;; [unrolled: 2-line block ×3, first 2 shown]
	v_lshl_add_u32 v52, v173, 4, v53
	v_add_nc_u32_e32 v53, v53, v255
	ds_store_b128 v52, v[54:57]
	ds_store_b128 v53, v[0:3] offset:1056
	ds_store_b128 v53, v[4:7] offset:2112
	;; [unrolled: 1-line block ×16, first 2 shown]
.LBB0_3:
	s_or_b32 exec_lo, exec_lo, s3
	s_clause 0x1
	s_load_b64 s[4:5], s[0:1], 0x20
	s_load_b64 s[2:3], s[0:1], 0x8
	global_wb scope:SCOPE_SE
	s_wait_storecnt_dscnt 0x0
	s_wait_kmcnt 0x0
	s_barrier_signal -1
	s_barrier_wait -1
	global_inv scope:SCOPE_SE
                                        ; implicit-def: $vgpr20_vgpr21
                                        ; implicit-def: $vgpr36_vgpr37
                                        ; implicit-def: $vgpr40_vgpr41
                                        ; implicit-def: $vgpr44_vgpr45
                                        ; implicit-def: $vgpr48_vgpr49
                                        ; implicit-def: $vgpr52_vgpr53
                                        ; implicit-def: $vgpr56_vgpr57
                                        ; implicit-def: $vgpr60_vgpr61
                                        ; implicit-def: $vgpr68_vgpr69
                                        ; implicit-def: $vgpr72_vgpr73
                                        ; implicit-def: $vgpr76_vgpr77
                                        ; implicit-def: $vgpr80_vgpr81
                                        ; implicit-def: $vgpr84_vgpr85
                                        ; implicit-def: $vgpr64_vgpr65
                                        ; implicit-def: $vgpr32_vgpr33
                                        ; implicit-def: $vgpr28_vgpr29
                                        ; implicit-def: $vgpr24_vgpr25
	s_and_saveexec_b32 s0, vcc_lo
	s_cbranch_execz .LBB0_5
; %bb.4:
	v_lshl_add_u32 v0, v162, 4, v255
	ds_load_b128 v[20:23], v0
	ds_load_b128 v[36:39], v0 offset:1056
	ds_load_b128 v[40:43], v0 offset:2112
	;; [unrolled: 1-line block ×16, first 2 shown]
.LBB0_5:
	s_wait_alu 0xfffe
	s_or_b32 exec_lo, exec_lo, s0
	s_wait_dscnt 0x0
	v_add_f64_e64 v[156:157], v[38:39], -v[26:27]
	v_add_f64_e64 v[104:105], v[42:43], -v[30:31]
	s_mov_b32 s0, 0x5d8e7cdc
	s_mov_b32 s10, 0x2a9d6da3
	;; [unrolled: 1-line block ×4, first 2 shown]
	v_add_f64_e32 v[148:149], v[36:37], v[24:25]
	v_add_f64_e64 v[106:107], v[40:41], -v[28:29]
	s_mov_b32 s6, 0x370991
	s_mov_b32 s7, 0x3fedd6d0
	v_add_f64_e32 v[88:89], v[40:41], v[28:29]
	s_mov_b32 s14, 0x75d4884
	s_mov_b32 s15, 0x3fe7a5f6
	v_add_f64_e64 v[187:188], v[36:37], -v[24:25]
	v_add_f64_e32 v[183:184], v[38:39], v[26:27]
	v_add_f64_e32 v[92:93], v[42:43], v[30:31]
	v_add_f64_e64 v[116:117], v[46:47], -v[34:35]
	s_mov_b32 s18, 0x7c9e640b
	s_mov_b32 s19, 0xbfeca52d
	v_add_f64_e32 v[96:97], v[44:45], v[32:33]
	s_mov_b32 s16, 0x2b2883cd
	s_mov_b32 s24, 0xeb564b22
	;; [unrolled: 1-line block ×4, first 2 shown]
	v_add_f64_e64 v[118:119], v[44:45], -v[32:33]
	v_add_f64_e32 v[112:113], v[46:47], v[34:35]
	s_mov_b32 s34, 0x6c9a05f6
	s_mov_b32 s35, 0xbfe9895b
	v_add_f64_e64 v[124:125], v[50:51], -v[66:67]
	v_add_f64_e32 v[108:109], v[48:49], v[64:65]
	s_mov_b32 s20, 0x3259b75e
	s_mov_b32 s21, 0x3fb79ee6
	;; [unrolled: 4-line block ×3, first 2 shown]
	v_add_f64_e64 v[132:133], v[54:55], -v[86:87]
	s_mov_b32 s26, 0x923c349f
	s_wait_alu 0xfffe
	v_mul_f64_e32 v[0:1], s[0:1], v[156:157]
	v_mul_f64_e32 v[2:3], s[10:11], v[104:105]
	;; [unrolled: 1-line block ×5, first 2 shown]
	s_mov_b32 s27, 0xbfeec746
	v_add_f64_e32 v[120:121], v[52:53], v[84:85]
	v_mul_f64_e32 v[4:5], s[10:11], v[106:107]
	v_mul_f64_e32 v[8:9], s[24:25], v[106:107]
	s_mov_b32 s22, 0xc61f0d01
	s_mov_b32 s23, 0xbfd183b1
	v_add_f64_e64 v[146:147], v[52:53], -v[84:85]
	v_mul_f64_e32 v[12:13], s[34:35], v[106:107]
	v_add_f64_e32 v[138:139], v[54:55], v[86:87]
	v_add_f64_e64 v[167:168], v[58:59], -v[82:83]
	v_mul_f64_e32 v[16:17], s[38:39], v[106:107]
	v_add_f64_e32 v[134:135], v[56:57], v[80:81]
	s_mov_b32 s28, 0x6ed5f1bb
	s_mov_b32 s56, 0x4363dd80
	;; [unrolled: 1-line block ×4, first 2 shown]
	v_add_f64_e64 v[169:170], v[56:57], -v[80:81]
	v_mul_f64_e32 v[18:19], s[56:57], v[104:105]
	v_add_f64_e32 v[152:153], v[58:59], v[82:83]
	v_add_f64_e64 v[175:176], v[62:63], -v[78:79]
	s_mov_b32 s55, 0xbfe0d888
	s_mov_b32 s54, s56
	v_add_f64_e32 v[142:143], v[60:61], v[76:77]
	s_mov_b32 s30, 0x910ea3b9
	s_mov_b32 s31, 0xbfeb34fa
	;; [unrolled: 1-line block ×4, first 2 shown]
	v_add_f64_e64 v[177:178], v[60:61], -v[76:77]
	v_mul_f64_e32 v[102:103], s[40:41], v[104:105]
	v_add_f64_e32 v[163:164], v[62:63], v[78:79]
	v_add_f64_e64 v[179:180], v[70:71], -v[74:75]
	v_add_f64_e32 v[158:159], v[68:69], v[72:73]
	s_mov_b32 s36, 0x7faef3
	s_mov_b32 s37, 0xbfef7484
	s_clause 0x1
	scratch_store_b64 off, v[2:3], off offset:16
	scratch_store_b64 off, v[0:1], off offset:176
	v_fma_f64 v[0:1], v[148:149], s[6:7], v[0:1]
	v_fma_f64 v[2:3], v[88:89], s[14:15], v[2:3]
	v_add_f64_e64 v[181:182], v[68:69], -v[72:73]
	v_add_f64_e32 v[171:172], v[70:71], v[74:75]
	scratch_store_b64 off, v[4:5], off offset:32 ; 8-byte Folded Spill
	v_fma_f64 v[4:5], v[92:93], s[14:15], -v[4:5]
	v_mul_f64_e32 v[231:232], s[10:11], v[156:157]
	v_mul_f64_e32 v[233:234], s[10:11], v[187:188]
	s_mov_b32 s45, 0x3feca52d
	s_mov_b32 s44, s18
	;; [unrolled: 1-line block ×4, first 2 shown]
	v_mul_f64_e32 v[235:236], s[18:19], v[156:157]
	v_mul_f64_e32 v[237:238], s[18:19], v[187:188]
	s_mov_b32 s47, 0x3fc7851a
	s_mov_b32 s46, s38
	;; [unrolled: 1-line block ×4, first 2 shown]
	v_mul_f64_e32 v[114:115], s[0:1], v[167:168]
	v_mul_f64_e32 v[136:137], s[48:49], v[146:147]
	;; [unrolled: 1-line block ×12, first 2 shown]
	s_mov_b32 s51, 0x3fe9895b
	s_mov_b32 s50, s34
	v_mul_f64_e32 v[90:91], s[48:49], v[179:180]
	v_mul_f64_e32 v[110:111], s[50:51], v[175:176]
	;; [unrolled: 1-line block ×6, first 2 shown]
	v_add_f64_e32 v[0:1], v[20:21], v[0:1]
	v_mul_f64_e32 v[165:166], s[48:49], v[118:119]
	v_mul_f64_e32 v[144:145], s[48:49], v[181:182]
	v_mul_f64_e32 v[201:202], s[18:19], v[130:131]
	v_mul_f64_e32 v[191:192], s[38:39], v[132:133]
	v_mul_f64_e32 v[219:220], s[38:39], v[146:147]
	s_mov_b32 s53, 0x3fefdd0d
	s_mov_b32 s52, s24
	v_mul_f64_e32 v[185:186], s[0:1], v[175:176]
	v_mul_f64_e32 v[211:212], s[52:53], v[167:168]
	;; [unrolled: 1-line block ×17, first 2 shown]
	scratch_store_b64 off, v[6:7], off offset:256 ; 8-byte Folded Spill
	v_fma_f64 v[6:7], v[88:89], s[20:21], v[6:7]
	scratch_store_b64 off, v[8:9], off offset:288 ; 8-byte Folded Spill
	v_fma_f64 v[8:9], v[92:93], s[20:21], -v[8:9]
	scratch_store_b64 off, v[10:11], off offset:320 ; 8-byte Folded Spill
	v_fma_f64 v[10:11], v[88:89], s[28:29], v[10:11]
	scratch_store_b64 off, v[14:15], off offset:392 ; 8-byte Folded Spill
	v_fma_f64 v[14:15], v[88:89], s[36:37], v[14:15]
	scratch_store_b64 off, v[12:13], off offset:384 ; 8-byte Folded Spill
	v_fma_f64 v[12:13], v[92:93], s[28:29], -v[12:13]
	scratch_store_b64 off, v[16:17], off offset:456 ; 8-byte Folded Spill
	v_fma_f64 v[16:17], v[92:93], s[36:37], -v[16:17]
	v_fma_f64 v[100:101], v[92:93], s[30:31], -v[98:99]
	v_add_f64_e32 v[0:1], v[2:3], v[0:1]
	v_mul_f64_e32 v[2:3], s[0:1], v[187:188]
	scratch_store_b64 off, v[18:19], off offset:432 ; 8-byte Folded Spill
	v_fma_f64 v[18:19], v[88:89], s[30:31], v[18:19]
	scratch_store_b64 off, v[102:103], off offset:496 ; 8-byte Folded Spill
	v_fma_f64 v[102:103], v[88:89], s[22:23], v[102:103]
	v_fma_f64 v[128:129], v[92:93], s[22:23], -v[173:174]
	scratch_store_b64 off, v[2:3], off offset:240 ; 8-byte Folded Spill
	v_fma_f64 v[2:3], v[183:184], s[6:7], -v[2:3]
	s_delay_alu instid0(VALU_DEP_1) | instskip(NEXT) | instid1(VALU_DEP_1)
	v_add_f64_e32 v[2:3], v[22:23], v[2:3]
	v_add_f64_e32 v[2:3], v[4:5], v[2:3]
	v_mul_f64_e32 v[4:5], s[18:19], v[116:117]
	scratch_store_b64 off, v[4:5], off offset:48 ; 8-byte Folded Spill
	v_fma_f64 v[4:5], v[96:97], s[16:17], v[4:5]
	s_delay_alu instid0(VALU_DEP_1) | instskip(SKIP_3) | instid1(VALU_DEP_1)
	v_add_f64_e32 v[0:1], v[4:5], v[0:1]
	v_mul_f64_e32 v[4:5], s[18:19], v[118:119]
	scratch_store_b64 off, v[4:5], off offset:80 ; 8-byte Folded Spill
	v_fma_f64 v[4:5], v[112:113], s[16:17], -v[4:5]
	v_add_f64_e32 v[2:3], v[4:5], v[2:3]
	v_mul_f64_e32 v[4:5], s[24:25], v[124:125]
	scratch_store_b64 off, v[4:5], off offset:64 ; 8-byte Folded Spill
	v_fma_f64 v[4:5], v[108:109], s[20:21], v[4:5]
	s_delay_alu instid0(VALU_DEP_1) | instskip(SKIP_3) | instid1(VALU_DEP_1)
	v_add_f64_e32 v[0:1], v[4:5], v[0:1]
	v_mul_f64_e32 v[4:5], s[24:25], v[130:131]
	scratch_store_b64 off, v[4:5], off offset:112 ; 8-byte Folded Spill
	v_fma_f64 v[4:5], v[126:127], s[20:21], -v[4:5]
	;; [unrolled: 9-line block ×6, first 2 shown]
	v_add_f64_e32 v[2:3], v[4:5], v[2:3]
	v_fma_f64 v[4:5], v[148:149], s[14:15], v[231:232]
	s_delay_alu instid0(VALU_DEP_1) | instskip(NEXT) | instid1(VALU_DEP_1)
	v_add_f64_e32 v[4:5], v[20:21], v[4:5]
	v_add_f64_e32 v[4:5], v[6:7], v[4:5]
	v_fma_f64 v[6:7], v[183:184], s[14:15], -v[233:234]
	s_delay_alu instid0(VALU_DEP_1) | instskip(NEXT) | instid1(VALU_DEP_1)
	v_add_f64_e32 v[6:7], v[22:23], v[6:7]
	v_add_f64_e32 v[6:7], v[8:9], v[6:7]
	v_mul_f64_e32 v[8:9], s[34:35], v[116:117]
	scratch_store_b64 off, v[8:9], off offset:264 ; 8-byte Folded Spill
	v_fma_f64 v[8:9], v[96:97], s[28:29], v[8:9]
	s_delay_alu instid0(VALU_DEP_1) | instskip(SKIP_3) | instid1(VALU_DEP_1)
	v_add_f64_e32 v[4:5], v[8:9], v[4:5]
	v_mul_f64_e32 v[8:9], s[34:35], v[118:119]
	scratch_store_b64 off, v[8:9], off offset:296 ; 8-byte Folded Spill
	v_fma_f64 v[8:9], v[112:113], s[28:29], -v[8:9]
	v_add_f64_e32 v[6:7], v[8:9], v[6:7]
	v_mul_f64_e32 v[8:9], s[38:39], v[124:125]
	scratch_store_b64 off, v[8:9], off offset:272 ; 8-byte Folded Spill
	v_fma_f64 v[8:9], v[108:109], s[36:37], v[8:9]
	s_delay_alu instid0(VALU_DEP_1) | instskip(SKIP_3) | instid1(VALU_DEP_1)
	v_add_f64_e32 v[4:5], v[8:9], v[4:5]
	v_mul_f64_e32 v[8:9], s[38:39], v[130:131]
	scratch_store_b64 off, v[8:9], off offset:328 ; 8-byte Folded Spill
	v_fma_f64 v[8:9], v[126:127], s[36:37], -v[8:9]
	;; [unrolled: 9-line block ×6, first 2 shown]
	v_add_f64_e32 v[6:7], v[8:9], v[6:7]
	v_fma_f64 v[8:9], v[148:149], s[16:17], v[235:236]
	s_delay_alu instid0(VALU_DEP_1) | instskip(NEXT) | instid1(VALU_DEP_1)
	v_add_f64_e32 v[8:9], v[20:21], v[8:9]
	v_add_f64_e32 v[8:9], v[10:11], v[8:9]
	v_fma_f64 v[10:11], v[183:184], s[16:17], -v[237:238]
	s_delay_alu instid0(VALU_DEP_1) | instskip(NEXT) | instid1(VALU_DEP_1)
	v_add_f64_e32 v[10:11], v[22:23], v[10:11]
	v_add_f64_e32 v[10:11], v[12:13], v[10:11]
	v_mul_f64_e32 v[12:13], s[46:47], v[116:117]
	scratch_store_b64 off, v[12:13], off offset:352 ; 8-byte Folded Spill
	v_fma_f64 v[12:13], v[96:97], s[36:37], v[12:13]
	s_delay_alu instid0(VALU_DEP_1) | instskip(SKIP_3) | instid1(VALU_DEP_1)
	v_add_f64_e32 v[8:9], v[12:13], v[8:9]
	v_mul_f64_e32 v[12:13], s[46:47], v[118:119]
	scratch_store_b64 off, v[12:13], off offset:416 ; 8-byte Folded Spill
	v_fma_f64 v[12:13], v[112:113], s[36:37], -v[12:13]
	v_add_f64_e32 v[10:11], v[12:13], v[10:11]
	v_mul_f64_e32 v[12:13], s[40:41], v[124:125]
	scratch_store_b64 off, v[12:13], off offset:360 ; 8-byte Folded Spill
	v_fma_f64 v[12:13], v[108:109], s[22:23], v[12:13]
	s_delay_alu instid0(VALU_DEP_1) | instskip(SKIP_3) | instid1(VALU_DEP_1)
	v_add_f64_e32 v[8:9], v[12:13], v[8:9]
	v_mul_f64_e32 v[12:13], s[40:41], v[130:131]
	scratch_store_b64 off, v[12:13], off offset:480 ; 8-byte Folded Spill
	v_fma_f64 v[12:13], v[126:127], s[22:23], -v[12:13]
	v_add_f64_e32 v[10:11], v[12:13], v[10:11]
	v_mul_f64_e32 v[12:13], s[48:49], v[132:133]
	scratch_store_b64 off, v[12:13], off offset:464 ; 8-byte Folded Spill
	v_fma_f64 v[12:13], v[120:121], s[14:15], v[12:13]
	s_delay_alu instid0(VALU_DEP_1) | instskip(SKIP_1) | instid1(VALU_DEP_1)
	v_add_f64_e32 v[8:9], v[12:13], v[8:9]
	v_fma_f64 v[12:13], v[138:139], s[14:15], -v[136:137]
	v_add_f64_e32 v[10:11], v[12:13], v[10:11]
	v_fma_f64 v[12:13], v[134:135], s[6:7], v[114:115]
	s_delay_alu instid0(VALU_DEP_1) | instskip(SKIP_1) | instid1(VALU_DEP_1)
	v_add_f64_e32 v[8:9], v[12:13], v[8:9]
	v_fma_f64 v[12:13], v[152:153], s[6:7], -v[197:198]
	v_add_f64_e32 v[10:11], v[12:13], v[10:11]
	v_mul_f64_e32 v[12:13], s[24:25], v[175:176]
	scratch_store_b64 off, v[12:13], off offset:472 ; 8-byte Folded Spill
	v_fma_f64 v[12:13], v[142:143], s[20:21], v[12:13]
	s_delay_alu instid0(VALU_DEP_1) | instskip(SKIP_1) | instid1(VALU_DEP_1)
	v_add_f64_e32 v[8:9], v[12:13], v[8:9]
	v_fma_f64 v[12:13], v[163:164], s[20:21], -v[253:254]
	v_add_f64_e32 v[10:11], v[12:13], v[10:11]
	v_mul_f64_e32 v[12:13], s[54:55], v[179:180]
	scratch_store_b64 off, v[12:13], off offset:448 ; 8-byte Folded Spill
	v_fma_f64 v[12:13], v[158:159], s[30:31], v[12:13]
	s_delay_alu instid0(VALU_DEP_1) | instskip(SKIP_3) | instid1(VALU_DEP_1)
	v_add_f64_e32 v[8:9], v[12:13], v[8:9]
	v_mul_f64_e32 v[12:13], s[54:55], v[181:182]
	scratch_store_b64 off, v[12:13], off offset:512 ; 8-byte Folded Spill
	v_fma_f64 v[12:13], v[171:172], s[30:31], -v[12:13]
	v_add_f64_e32 v[10:11], v[12:13], v[10:11]
	v_fma_f64 v[12:13], v[148:149], s[20:21], v[239:240]
	s_delay_alu instid0(VALU_DEP_1) | instskip(NEXT) | instid1(VALU_DEP_1)
	v_add_f64_e32 v[12:13], v[20:21], v[12:13]
	v_add_f64_e32 v[12:13], v[14:15], v[12:13]
	v_fma_f64 v[14:15], v[183:184], s[20:21], -v[241:242]
	s_delay_alu instid0(VALU_DEP_1) | instskip(NEXT) | instid1(VALU_DEP_1)
	v_add_f64_e32 v[14:15], v[22:23], v[14:15]
	v_add_f64_e32 v[14:15], v[16:17], v[14:15]
	v_mul_f64_e32 v[16:17], s[40:41], v[116:117]
	scratch_store_b64 off, v[16:17], off offset:424 ; 8-byte Folded Spill
	v_fma_f64 v[16:17], v[96:97], s[22:23], v[16:17]
	s_delay_alu instid0(VALU_DEP_1) | instskip(SKIP_1) | instid1(VALU_DEP_1)
	v_add_f64_e32 v[12:13], v[16:17], v[12:13]
	v_fma_f64 v[16:17], v[112:113], s[22:23], -v[94:95]
	v_add_f64_e32 v[14:15], v[16:17], v[14:15]
	v_mul_f64_e32 v[16:17], s[42:43], v[124:125]
	scratch_store_b64 off, v[16:17], off offset:440 ; 8-byte Folded Spill
	v_fma_f64 v[16:17], v[108:109], s[6:7], v[16:17]
	s_delay_alu instid0(VALU_DEP_1) | instskip(SKIP_1) | instid1(VALU_DEP_1)
	v_add_f64_e32 v[12:13], v[16:17], v[12:13]
	v_fma_f64 v[16:17], v[126:127], s[6:7], -v[150:151]
	v_add_f64_e32 v[14:15], v[16:17], v[14:15]
	v_fma_f64 v[16:17], v[120:121], s[16:17], v[122:123]
	s_delay_alu instid0(VALU_DEP_1) | instskip(SKIP_1) | instid1(VALU_DEP_1)
	v_add_f64_e32 v[12:13], v[16:17], v[12:13]
	v_fma_f64 v[16:17], v[138:139], s[16:17], -v[195:196]
	v_add_f64_e32 v[14:15], v[16:17], v[14:15]
	;; [unrolled: 5-line block ×5, first 2 shown]
	v_fma_f64 v[16:17], v[148:149], s[22:23], v[243:244]
	s_delay_alu instid0(VALU_DEP_1) | instskip(NEXT) | instid1(VALU_DEP_1)
	v_add_f64_e32 v[16:17], v[20:21], v[16:17]
	v_add_f64_e32 v[16:17], v[18:19], v[16:17]
	v_fma_f64 v[18:19], v[183:184], s[22:23], -v[245:246]
	s_delay_alu instid0(VALU_DEP_1) | instskip(NEXT) | instid1(VALU_DEP_1)
	v_add_f64_e32 v[18:19], v[22:23], v[18:19]
	v_add_f64_e32 v[18:19], v[100:101], v[18:19]
	v_mul_f64_e32 v[100:101], s[48:49], v[116:117]
	scratch_store_b64 off, v[100:101], off offset:488 ; 8-byte Folded Spill
	v_fma_f64 v[100:101], v[96:97], s[14:15], v[100:101]
	s_delay_alu instid0(VALU_DEP_1) | instskip(SKIP_1) | instid1(VALU_DEP_1)
	v_add_f64_e32 v[16:17], v[100:101], v[16:17]
	v_fma_f64 v[100:101], v[112:113], s[14:15], -v[165:166]
	v_add_f64_e32 v[18:19], v[100:101], v[18:19]
	v_mul_f64_e32 v[100:101], s[18:19], v[124:125]
	scratch_store_b64 off, v[100:101], off offset:504 ; 8-byte Folded Spill
	v_fma_f64 v[100:101], v[108:109], s[16:17], v[100:101]
	global_wb scope:SCOPE_SE
	s_wait_storecnt 0x0
	s_barrier_signal -1
	s_barrier_wait -1
	global_inv scope:SCOPE_SE
	v_add_f64_e32 v[16:17], v[100:101], v[16:17]
	v_fma_f64 v[100:101], v[126:127], s[16:17], -v[201:202]
	s_delay_alu instid0(VALU_DEP_1) | instskip(SKIP_1) | instid1(VALU_DEP_1)
	v_add_f64_e32 v[18:19], v[100:101], v[18:19]
	v_fma_f64 v[100:101], v[120:121], s[36:37], v[191:192]
	v_add_f64_e32 v[16:17], v[100:101], v[16:17]
	v_fma_f64 v[100:101], v[138:139], s[36:37], -v[219:220]
	s_delay_alu instid0(VALU_DEP_1) | instskip(SKIP_1) | instid1(VALU_DEP_1)
	v_add_f64_e32 v[18:19], v[100:101], v[18:19]
	v_fma_f64 v[100:101], v[134:135], s[20:21], v[211:212]
	;; [unrolled: 5-line block ×5, first 2 shown]
	v_add_f64_e32 v[100:101], v[20:21], v[100:101]
	s_delay_alu instid0(VALU_DEP_1) | instskip(SKIP_1) | instid1(VALU_DEP_1)
	v_add_f64_e32 v[100:101], v[102:103], v[100:101]
	v_fma_f64 v[102:103], v[183:184], s[28:29], -v[249:250]
	v_add_f64_e32 v[102:103], v[22:23], v[102:103]
	s_delay_alu instid0(VALU_DEP_1) | instskip(SKIP_1) | instid1(VALU_DEP_1)
	v_add_f64_e32 v[102:103], v[128:129], v[102:103]
	v_mul_f64_e32 v[128:129], s[0:1], v[116:117]
	v_fma_f64 v[140:141], v[96:97], s[6:7], v[128:129]
	s_delay_alu instid0(VALU_DEP_1) | instskip(SKIP_1) | instid1(VALU_DEP_1)
	v_add_f64_e32 v[100:101], v[140:141], v[100:101]
	v_fma_f64 v[140:141], v[112:113], s[6:7], -v[207:208]
	v_add_f64_e32 v[102:103], v[140:141], v[102:103]
	v_mul_f64_e32 v[140:141], s[54:55], v[124:125]
	s_delay_alu instid0(VALU_DEP_1) | instskip(NEXT) | instid1(VALU_DEP_1)
	v_fma_f64 v[193:194], v[108:109], s[30:31], v[140:141]
	v_add_f64_e32 v[100:101], v[193:194], v[100:101]
	v_fma_f64 v[193:194], v[126:127], s[30:31], -v[221:222]
	s_delay_alu instid0(VALU_DEP_1) | instskip(SKIP_1) | instid1(VALU_DEP_1)
	v_add_f64_e32 v[102:103], v[193:194], v[102:103]
	v_fma_f64 v[193:194], v[120:121], s[20:21], v[209:210]
	v_add_f64_e32 v[100:101], v[193:194], v[100:101]
	v_fma_f64 v[193:194], v[138:139], s[20:21], -v[225:226]
	s_delay_alu instid0(VALU_DEP_1) | instskip(SKIP_1) | instid1(VALU_DEP_1)
	v_add_f64_e32 v[102:103], v[193:194], v[102:103]
	;; [unrolled: 5-line block ×4, first 2 shown]
	v_mul_f64_e32 v[193:194], s[44:45], v[179:180]
	v_fma_f64 v[213:214], v[158:159], s[16:17], v[193:194]
	s_delay_alu instid0(VALU_DEP_1) | instskip(SKIP_1) | instid1(VALU_DEP_1)
	v_add_f64_e32 v[100:101], v[213:214], v[100:101]
	v_mul_f64_e32 v[213:214], s[44:45], v[181:182]
	v_fma_f64 v[251:252], v[171:172], s[16:17], -v[213:214]
	s_delay_alu instid0(VALU_DEP_1)
	v_add_f64_e32 v[102:103], v[251:252], v[102:103]
	s_and_saveexec_b32 s33, vcc_lo
	s_cbranch_execz .LBB0_7
; %bb.6:
	v_add_f64_e32 v[36:37], v[20:21], v[36:37]
	v_add_f64_e32 v[38:39], v[22:23], v[38:39]
	s_delay_alu instid0(VALU_DEP_2) | instskip(NEXT) | instid1(VALU_DEP_2)
	v_add_f64_e32 v[36:37], v[36:37], v[40:41]
	v_add_f64_e32 v[38:39], v[38:39], v[42:43]
	v_mul_f64_e32 v[40:41], s[22:23], v[183:184]
	v_mul_f64_e32 v[42:43], s[22:23], v[148:149]
	s_delay_alu instid0(VALU_DEP_4) | instskip(NEXT) | instid1(VALU_DEP_4)
	v_add_f64_e32 v[36:37], v[36:37], v[44:45]
	v_add_f64_e32 v[38:39], v[38:39], v[46:47]
	v_mul_f64_e32 v[44:45], s[20:21], v[183:184]
	v_add_f64_e32 v[40:41], v[245:246], v[40:41]
	v_mul_f64_e32 v[46:47], s[20:21], v[148:149]
	v_add_f64_e64 v[42:43], v[42:43], -v[243:244]
	v_add_f64_e32 v[36:37], v[36:37], v[48:49]
	v_add_f64_e32 v[38:39], v[38:39], v[50:51]
	;; [unrolled: 1-line block ×3, first 2 shown]
	v_mul_f64_e32 v[50:51], s[16:17], v[148:149]
	v_add_f64_e64 v[46:47], v[46:47], -v[239:240]
	v_mul_f64_e32 v[48:49], s[16:17], v[183:184]
	v_add_f64_e32 v[36:37], v[36:37], v[52:53]
	v_add_f64_e32 v[38:39], v[38:39], v[54:55]
	v_mul_f64_e32 v[54:55], s[14:15], v[148:149]
	v_add_f64_e64 v[50:51], v[50:51], -v[235:236]
	v_mul_f64_e32 v[52:53], s[14:15], v[183:184]
	v_add_f64_e32 v[48:49], v[237:238], v[48:49]
	v_add_f64_e32 v[36:37], v[36:37], v[56:57]
	;; [unrolled: 1-line block ×3, first 2 shown]
	scratch_load_b64 v[58:59], off, off offset:240 th:TH_LOAD_LU ; 8-byte Folded Reload
	v_mul_f64_e32 v[56:57], s[6:7], v[183:184]
	v_add_f64_e64 v[54:55], v[54:55], -v[231:232]
	v_add_f64_e32 v[52:53], v[233:234], v[52:53]
	v_add_f64_e32 v[36:37], v[36:37], v[60:61]
	v_add_f64_e32 v[38:39], v[38:39], v[62:63]
	v_mul_f64_e32 v[60:61], s[54:55], v[156:157]
	s_delay_alu instid0(VALU_DEP_3) | instskip(SKIP_3) | instid1(VALU_DEP_2)
	v_add_f64_e32 v[36:37], v[36:37], v[68:69]
	scratch_load_b64 v[68:69], off, off offset:176 th:TH_LOAD_LU ; 8-byte Folded Reload
	v_add_f64_e32 v[38:39], v[38:39], v[70:71]
	v_add_f64_e32 v[36:37], v[36:37], v[72:73]
	;; [unrolled: 1-line block ×3, first 2 shown]
	s_delay_alu instid0(VALU_DEP_2) | instskip(SKIP_1) | instid1(VALU_DEP_3)
	v_add_f64_e32 v[36:37], v[36:37], v[76:77]
	v_add_f64_e32 v[76:77], v[22:23], v[40:41]
	;; [unrolled: 1-line block ×4, first 2 shown]
	v_mul_f64_e32 v[44:45], s[6:7], v[92:93]
	v_add_f64_e32 v[78:79], v[20:21], v[42:43]
	v_add_f64_e32 v[42:43], v[20:21], v[46:47]
	v_mul_f64_e32 v[46:47], s[30:31], v[112:113]
	v_add_f64_e32 v[36:37], v[36:37], v[80:81]
	v_add_f64_e32 v[38:39], v[38:39], v[82:83]
	s_delay_alu instid0(VALU_DEP_2) | instskip(NEXT) | instid1(VALU_DEP_2)
	v_add_f64_e32 v[36:37], v[36:37], v[84:85]
	v_add_f64_e32 v[38:39], v[38:39], v[86:87]
	s_delay_alu instid0(VALU_DEP_2) | instskip(SKIP_1) | instid1(VALU_DEP_3)
	v_add_f64_e32 v[36:37], v[36:37], v[64:65]
	v_fma_f64 v[64:65], v[148:149], s[30:31], v[60:61]
	v_add_f64_e32 v[38:39], v[38:39], v[66:67]
	v_mul_f64_e32 v[66:67], s[6:7], v[148:149]
	v_fma_f64 v[60:61], v[148:149], s[30:31], -v[60:61]
	v_add_f64_e32 v[32:33], v[36:37], v[32:33]
	v_mul_f64_e32 v[36:37], s[28:29], v[183:184]
	v_add_f64_e32 v[34:35], v[38:39], v[34:35]
	v_mul_f64_e32 v[38:39], s[28:29], v[148:149]
	v_add_f64_e32 v[64:65], v[20:21], v[64:65]
	v_add_f64_e32 v[60:61], v[20:21], v[60:61]
	s_wait_loadcnt 0x1
	v_add_f64_e32 v[56:57], v[58:59], v[56:57]
	v_mul_f64_e32 v[58:59], s[38:39], v[156:157]
	v_mul_f64_e32 v[156:157], s[20:21], v[171:172]
	v_add_f64_e32 v[28:29], v[32:33], v[28:29]
	v_mul_f64_e32 v[32:33], s[30:31], v[183:184]
	v_add_f64_e32 v[30:31], v[34:35], v[30:31]
	v_add_f64_e64 v[38:39], v[38:39], -v[247:248]
	v_add_f64_e32 v[36:37], v[249:250], v[36:37]
	v_add_f64_e32 v[80:81], v[22:23], v[56:57]
	v_fma_f64 v[62:63], v[148:149], s[36:37], v[58:59]
	v_fma_f64 v[58:59], v[148:149], s[36:37], -v[58:59]
	v_add_f64_e32 v[24:25], v[28:29], v[24:25]
	v_mul_f64_e32 v[28:29], s[36:37], v[183:184]
	v_add_f64_e32 v[26:27], v[30:31], v[26:27]
	v_fma_f64 v[34:35], v[187:188], s[56:57], v[32:33]
	v_add_f64_e32 v[74:75], v[20:21], v[38:39]
	v_add_f64_e32 v[38:39], v[20:21], v[50:51]
	v_fma_f64 v[32:33], v[187:188], s[54:55], v[32:33]
	v_add_f64_e32 v[72:73], v[22:23], v[36:37]
	v_add_f64_e32 v[36:37], v[22:23], v[48:49]
	v_fma_f64 v[48:49], v[118:119], s[56:57], v[46:47]
	v_mul_f64_e32 v[183:184], s[52:53], v[179:180]
	s_wait_loadcnt 0x0
	v_add_f64_e64 v[66:67], v[66:67], -v[68:69]
	v_add_f64_e32 v[62:63], v[20:21], v[62:63]
	v_add_f64_e32 v[58:59], v[20:21], v[58:59]
	v_fma_f64 v[30:31], v[187:188], s[46:47], v[28:29]
	v_fma_f64 v[28:29], v[187:188], s[38:39], v[28:29]
	v_add_f64_e32 v[68:69], v[22:23], v[34:35]
	v_add_f64_e32 v[34:35], v[20:21], v[54:55]
	;; [unrolled: 1-line block ×5, first 2 shown]
	v_fma_f64 v[20:21], v[106:107], s[0:1], v[44:45]
	v_fma_f64 v[44:45], v[106:107], s[42:43], v[44:45]
	v_add_f64_e32 v[30:31], v[22:23], v[30:31]
	v_add_f64_e32 v[28:29], v[22:23], v[28:29]
	s_delay_alu instid0(VALU_DEP_2) | instskip(SKIP_1) | instid1(VALU_DEP_3)
	v_add_f64_e32 v[20:21], v[20:21], v[30:31]
	v_mul_f64_e32 v[30:31], s[42:43], v[104:105]
	v_add_f64_e32 v[28:29], v[44:45], v[28:29]
	v_fma_f64 v[44:45], v[118:119], s[54:55], v[46:47]
	v_fma_f64 v[46:47], v[158:159], s[20:21], -v[183:184]
	v_add_f64_e32 v[20:21], v[48:49], v[20:21]
	v_fma_f64 v[22:23], v[88:89], s[6:7], v[30:31]
	v_mul_f64_e32 v[48:49], s[54:55], v[116:117]
	v_fma_f64 v[30:31], v[88:89], s[6:7], -v[30:31]
	v_add_f64_e32 v[28:29], v[44:45], v[28:29]
	s_delay_alu instid0(VALU_DEP_4) | instskip(NEXT) | instid1(VALU_DEP_4)
	v_add_f64_e32 v[22:23], v[22:23], v[62:63]
	v_fma_f64 v[50:51], v[96:97], s[30:31], v[48:49]
	s_delay_alu instid0(VALU_DEP_4)
	v_add_f64_e32 v[30:31], v[30:31], v[58:59]
	v_fma_f64 v[44:45], v[96:97], s[30:31], -v[48:49]
	scratch_load_b64 v[48:49], off, off offset:368 th:TH_LOAD_LU ; 8-byte Folded Reload
	v_add_f64_e32 v[22:23], v[50:51], v[22:23]
	v_mul_f64_e32 v[50:51], s[14:15], v[126:127]
	v_add_f64_e32 v[30:31], v[44:45], v[30:31]
	s_delay_alu instid0(VALU_DEP_2)
	v_fma_f64 v[52:53], v[130:131], s[10:11], v[50:51]
	v_fma_f64 v[44:45], v[130:131], s[48:49], v[50:51]
	scratch_load_b64 v[50:51], off, off offset:328 th:TH_LOAD_LU ; 8-byte Folded Reload
	v_add_f64_e32 v[20:21], v[52:53], v[20:21]
	v_mul_f64_e32 v[52:53], s[48:49], v[124:125]
	v_add_f64_e32 v[28:29], v[44:45], v[28:29]
	s_delay_alu instid0(VALU_DEP_2)
	v_fma_f64 v[54:55], v[108:109], s[14:15], v[52:53]
	v_fma_f64 v[44:45], v[108:109], s[14:15], -v[52:53]
	scratch_load_b64 v[52:53], off, off offset:296 th:TH_LOAD_LU ; 8-byte Folded Reload
	v_add_f64_e32 v[22:23], v[54:55], v[22:23]
	v_mul_f64_e32 v[54:55], s[28:29], v[138:139]
	v_add_f64_e32 v[30:31], v[44:45], v[30:31]
	s_delay_alu instid0(VALU_DEP_2)
	v_fma_f64 v[56:57], v[146:147], s[50:51], v[54:55]
	v_fma_f64 v[44:45], v[146:147], s[34:35], v[54:55]
	scratch_load_b64 v[54:55], off, off offset:288 th:TH_LOAD_LU ; 8-byte Folded Reload
	v_add_f64_e32 v[20:21], v[56:57], v[20:21]
	v_mul_f64_e32 v[56:57], s[34:35], v[132:133]
	v_add_f64_e32 v[28:29], v[44:45], v[28:29]
	s_delay_alu instid0(VALU_DEP_2)
	v_fma_f64 v[62:63], v[120:121], s[28:29], v[56:57]
	v_fma_f64 v[44:45], v[120:121], s[28:29], -v[56:57]
	s_clause 0x1
	scratch_load_b64 v[56:57], off, off offset:344 th:TH_LOAD_LU
	scratch_load_b64 v[58:59], off, off offset:304 th:TH_LOAD_LU
	v_add_f64_e32 v[22:23], v[62:63], v[22:23]
	v_mul_f64_e32 v[62:63], s[16:17], v[152:153]
	v_add_f64_e32 v[30:31], v[44:45], v[30:31]
	s_delay_alu instid0(VALU_DEP_2)
	v_fma_f64 v[82:83], v[169:170], s[18:19], v[62:63]
	v_fma_f64 v[44:45], v[169:170], s[44:45], v[62:63]
	scratch_load_b64 v[62:63], off, off offset:256 th:TH_LOAD_LU ; 8-byte Folded Reload
	v_add_f64_e32 v[20:21], v[82:83], v[20:21]
	v_mul_f64_e32 v[82:83], s[44:45], v[167:168]
	v_add_f64_e32 v[28:29], v[44:45], v[28:29]
	s_delay_alu instid0(VALU_DEP_2)
	v_fma_f64 v[84:85], v[134:135], s[16:17], v[82:83]
	v_fma_f64 v[44:45], v[134:135], s[16:17], -v[82:83]
	scratch_load_b64 v[82:83], off, off offset:264 th:TH_LOAD_LU ; 8-byte Folded Reload
	v_add_f64_e32 v[22:23], v[84:85], v[22:23]
	v_mul_f64_e32 v[84:85], s[22:23], v[163:164]
	v_add_f64_e32 v[30:31], v[44:45], v[30:31]
	s_delay_alu instid0(VALU_DEP_2) | instskip(SKIP_1) | instid1(VALU_DEP_2)
	v_fma_f64 v[86:87], v[177:178], s[40:41], v[84:85]
	v_fma_f64 v[44:45], v[177:178], s[26:27], v[84:85]
	v_add_f64_e32 v[20:21], v[86:87], v[20:21]
	v_mul_f64_e32 v[86:87], s[26:27], v[175:176]
	s_delay_alu instid0(VALU_DEP_3) | instskip(NEXT) | instid1(VALU_DEP_2)
	v_add_f64_e32 v[28:29], v[44:45], v[28:29]
	v_fma_f64 v[44:45], v[142:143], s[22:23], -v[86:87]
	v_fma_f64 v[148:149], v[142:143], s[22:23], v[86:87]
	s_delay_alu instid0(VALU_DEP_2) | instskip(SKIP_1) | instid1(VALU_DEP_3)
	v_add_f64_e32 v[44:45], v[44:45], v[30:31]
	v_fma_f64 v[30:31], v[181:182], s[52:53], v[156:157]
	v_add_f64_e32 v[148:149], v[148:149], v[22:23]
	v_fma_f64 v[22:23], v[181:182], s[24:25], v[156:157]
	s_delay_alu instid0(VALU_DEP_3)
	v_add_f64_e32 v[30:31], v[30:31], v[28:29]
	v_add_f64_e32 v[28:29], v[46:47], v[44:45]
	scratch_load_b64 v[46:47], off, off offset:408 th:TH_LOAD_LU ; 8-byte Folded Reload
	v_mul_f64_e32 v[44:45], s[22:23], v[152:153]
	v_add_f64_e32 v[22:23], v[22:23], v[20:21]
	v_fma_f64 v[20:21], v[158:159], s[20:21], v[183:184]
	s_delay_alu instid0(VALU_DEP_1) | instskip(SKIP_1) | instid1(VALU_DEP_4)
	v_add_f64_e32 v[20:21], v[20:21], v[148:149]
	s_wait_loadcnt 0x0
	v_add_f64_e32 v[44:45], v[46:47], v[44:45]
	v_mul_f64_e32 v[46:47], s[30:31], v[138:139]
	s_delay_alu instid0(VALU_DEP_1) | instskip(SKIP_1) | instid1(VALU_DEP_1)
	v_add_f64_e32 v[46:47], v[48:49], v[46:47]
	v_mul_f64_e32 v[48:49], s[36:37], v[126:127]
	v_add_f64_e32 v[48:49], v[50:51], v[48:49]
	v_mul_f64_e32 v[50:51], s[28:29], v[112:113]
	s_delay_alu instid0(VALU_DEP_1) | instskip(SKIP_1) | instid1(VALU_DEP_1)
	v_add_f64_e32 v[50:51], v[52:53], v[50:51]
	v_mul_f64_e32 v[52:53], s[20:21], v[92:93]
	v_add_f64_e32 v[52:53], v[54:55], v[52:53]
	v_mul_f64_e32 v[54:55], s[22:23], v[134:135]
	s_delay_alu instid0(VALU_DEP_2) | instskip(NEXT) | instid1(VALU_DEP_2)
	v_add_f64_e32 v[32:33], v[52:53], v[32:33]
	v_add_f64_e64 v[54:55], v[54:55], -v[56:57]
	v_mul_f64_e32 v[56:57], s[30:31], v[120:121]
	v_mul_f64_e32 v[52:53], s[36:37], v[108:109]
	s_delay_alu instid0(VALU_DEP_4) | instskip(SKIP_1) | instid1(VALU_DEP_4)
	v_add_f64_e32 v[32:33], v[50:51], v[32:33]
	v_mul_f64_e32 v[50:51], s[16:17], v[163:164]
	v_add_f64_e64 v[56:57], v[56:57], -v[58:59]
	v_mul_f64_e32 v[58:59], s[20:21], v[88:89]
	s_delay_alu instid0(VALU_DEP_4) | instskip(SKIP_1) | instid1(VALU_DEP_3)
	v_add_f64_e32 v[32:33], v[48:49], v[32:33]
	v_mul_f64_e32 v[48:49], s[16:17], v[142:143]
	v_add_f64_e64 v[58:59], v[58:59], -v[62:63]
	v_mul_f64_e32 v[62:63], s[28:29], v[96:97]
	s_delay_alu instid0(VALU_DEP_4) | instskip(SKIP_1) | instid1(VALU_DEP_4)
	v_add_f64_e32 v[32:33], v[46:47], v[32:33]
	v_mul_f64_e32 v[46:47], s[6:7], v[171:172]
	v_add_f64_e32 v[34:35], v[58:59], v[34:35]
	scratch_load_b64 v[58:59], off, off offset:272 th:TH_LOAD_LU ; 8-byte Folded Reload
	v_add_f64_e64 v[62:63], v[62:63], -v[82:83]
	scratch_load_b64 v[82:83], off, off offset:352 th:TH_LOAD_LU ; 8-byte Folded Reload
	v_add_f64_e32 v[32:33], v[44:45], v[32:33]
	v_mul_f64_e32 v[44:45], s[6:7], v[158:159]
	v_add_f64_e32 v[34:35], v[62:63], v[34:35]
	scratch_load_b64 v[62:63], off, off offset:320 th:TH_LOAD_LU ; 8-byte Folded Reload
	s_wait_loadcnt 0x2
	v_add_f64_e64 v[52:53], v[52:53], -v[58:59]
	scratch_load_b64 v[58:59], off, off offset:376 th:TH_LOAD_LU ; 8-byte Folded Reload
	v_add_f64_e32 v[34:35], v[52:53], v[34:35]
	scratch_load_b64 v[52:53], off, off offset:312 th:TH_LOAD_LU ; 8-byte Folded Reload
	v_add_f64_e32 v[34:35], v[56:57], v[34:35]
	v_mul_f64_e32 v[56:57], s[14:15], v[120:121]
	s_delay_alu instid0(VALU_DEP_2)
	v_add_f64_e32 v[34:35], v[54:55], v[34:35]
	scratch_load_b64 v[54:55], off, off offset:384 th:TH_LOAD_LU ; 8-byte Folded Reload
	s_wait_loadcnt 0x2
	v_add_f64_e32 v[50:51], v[58:59], v[50:51]
	scratch_load_b64 v[58:59], off, off offset:464 th:TH_LOAD_LU ; 8-byte Folded Reload
	s_wait_loadcnt 0x2
	v_add_f64_e64 v[48:49], v[48:49], -v[52:53]
	scratch_load_b64 v[52:53], off, off offset:400 th:TH_LOAD_LU ; 8-byte Folded Reload
	v_add_f64_e32 v[32:33], v[50:51], v[32:33]
	scratch_load_b64 v[50:51], off, off offset:480 th:TH_LOAD_LU ; 8-byte Folded Reload
	v_add_f64_e32 v[48:49], v[48:49], v[34:35]
	s_wait_loadcnt 0x2
	v_add_f64_e64 v[56:57], v[56:57], -v[58:59]
	v_mul_f64_e32 v[58:59], s[28:29], v[88:89]
	s_delay_alu instid0(VALU_DEP_1) | instskip(SKIP_1) | instid1(VALU_DEP_2)
	v_add_f64_e64 v[58:59], v[58:59], -v[62:63]
	v_mul_f64_e32 v[62:63], s[36:37], v[96:97]
	v_add_f64_e32 v[38:39], v[58:59], v[38:39]
	s_delay_alu instid0(VALU_DEP_2)
	v_add_f64_e64 v[62:63], v[62:63], -v[82:83]
	scratch_load_b64 v[82:83], off, off offset:424 th:TH_LOAD_LU ; 8-byte Folded Reload
	s_wait_loadcnt 0x2
	v_add_f64_e32 v[46:47], v[52:53], v[46:47]
	scratch_load_b64 v[52:53], off, off offset:336 th:TH_LOAD_LU ; 8-byte Folded Reload
	v_add_f64_e32 v[38:39], v[62:63], v[38:39]
	s_clause 0x1
	scratch_load_b64 v[62:63], off, off offset:392 th:TH_LOAD_LU
	scratch_load_b64 v[58:59], off, off offset:360 th:TH_LOAD_LU
	v_add_f64_e32 v[34:35], v[46:47], v[32:33]
	v_mul_f64_e32 v[46:47], s[14:15], v[138:139]
	s_delay_alu instid0(VALU_DEP_1)
	v_add_f64_e32 v[46:47], v[136:137], v[46:47]
	s_wait_loadcnt 0x2
	v_add_f64_e64 v[44:45], v[44:45], -v[52:53]
	scratch_load_b64 v[52:53], off, off offset:416 th:TH_LOAD_LU ; 8-byte Folded Reload
	v_add_f64_e32 v[32:33], v[44:45], v[48:49]
	v_mul_f64_e32 v[48:49], s[22:23], v[126:127]
	v_mul_f64_e32 v[44:45], s[6:7], v[152:153]
	s_delay_alu instid0(VALU_DEP_2) | instskip(SKIP_1) | instid1(VALU_DEP_3)
	v_add_f64_e32 v[48:49], v[50:51], v[48:49]
	v_mul_f64_e32 v[50:51], s[36:37], v[112:113]
	v_add_f64_e32 v[44:45], v[197:198], v[44:45]
	s_wait_loadcnt 0x0
	s_delay_alu instid0(VALU_DEP_2) | instskip(SKIP_1) | instid1(VALU_DEP_1)
	v_add_f64_e32 v[50:51], v[52:53], v[50:51]
	v_mul_f64_e32 v[52:53], s[28:29], v[92:93]
	v_add_f64_e32 v[52:53], v[54:55], v[52:53]
	v_mul_f64_e32 v[54:55], s[6:7], v[134:135]
	s_delay_alu instid0(VALU_DEP_2) | instskip(SKIP_1) | instid1(VALU_DEP_3)
	v_add_f64_e32 v[36:37], v[52:53], v[36:37]
	v_mul_f64_e32 v[52:53], s[22:23], v[108:109]
	v_add_f64_e64 v[54:55], v[54:55], -v[114:115]
	s_delay_alu instid0(VALU_DEP_3) | instskip(NEXT) | instid1(VALU_DEP_3)
	v_add_f64_e32 v[36:37], v[50:51], v[36:37]
	v_add_f64_e64 v[52:53], v[52:53], -v[58:59]
	v_mul_f64_e32 v[58:59], s[36:37], v[88:89]
	v_mul_f64_e32 v[50:51], s[20:21], v[163:164]
	s_delay_alu instid0(VALU_DEP_4) | instskip(NEXT) | instid1(VALU_DEP_4)
	v_add_f64_e32 v[36:37], v[48:49], v[36:37]
	v_add_f64_e32 v[38:39], v[52:53], v[38:39]
	scratch_load_b64 v[52:53], off, off offset:472 th:TH_LOAD_LU ; 8-byte Folded Reload
	v_mul_f64_e32 v[48:49], s[20:21], v[142:143]
	v_add_f64_e64 v[58:59], v[58:59], -v[62:63]
	v_mul_f64_e32 v[62:63], s[22:23], v[96:97]
	v_add_f64_e32 v[50:51], v[253:254], v[50:51]
	v_add_f64_e32 v[36:37], v[46:47], v[36:37]
	v_mul_f64_e32 v[46:47], s[30:31], v[171:172]
	v_add_f64_e32 v[38:39], v[56:57], v[38:39]
	v_mul_f64_e32 v[56:57], s[16:17], v[120:121]
	v_add_f64_e32 v[42:43], v[58:59], v[42:43]
	v_add_f64_e64 v[62:63], v[62:63], -v[82:83]
	scratch_load_b64 v[82:83], off, off offset:488 th:TH_LOAD_LU ; 8-byte Folded Reload
	v_add_f64_e32 v[36:37], v[44:45], v[36:37]
	v_mul_f64_e32 v[44:45], s[30:31], v[158:159]
	v_add_f64_e32 v[38:39], v[54:55], v[38:39]
	v_add_f64_e64 v[56:57], v[56:57], -v[122:123]
	s_clause 0x1
	scratch_load_b64 v[54:55], off, off offset:456 th:TH_LOAD_LU
	scratch_load_b64 v[58:59], off, off offset:440 th:TH_LOAD_LU
	v_add_f64_e32 v[42:43], v[62:63], v[42:43]
	scratch_load_b64 v[62:63], off, off offset:432 th:TH_LOAD_LU ; 8-byte Folded Reload
	v_add_f64_e32 v[36:37], v[50:51], v[36:37]
	v_mul_f64_e32 v[50:51], s[22:23], v[112:113]
	s_delay_alu instid0(VALU_DEP_1)
	v_add_f64_e32 v[50:51], v[94:95], v[50:51]
	v_mul_f64_e32 v[94:95], s[26:27], v[179:180]
	s_wait_loadcnt 0x4
	v_add_f64_e64 v[48:49], v[48:49], -v[52:53]
	scratch_load_b64 v[52:53], off, off offset:512 th:TH_LOAD_LU ; 8-byte Folded Reload
	v_add_f64_e32 v[48:49], v[48:49], v[38:39]
	s_wait_loadcnt 0x0
	v_add_f64_e32 v[46:47], v[52:53], v[46:47]
	scratch_load_b64 v[52:53], off, off offset:448 th:TH_LOAD_LU ; 8-byte Folded Reload
	v_add_f64_e32 v[38:39], v[46:47], v[36:37]
	v_mul_f64_e32 v[46:47], s[16:17], v[138:139]
	s_delay_alu instid0(VALU_DEP_1) | instskip(SKIP_3) | instid1(VALU_DEP_2)
	v_add_f64_e32 v[46:47], v[195:196], v[46:47]
	s_wait_loadcnt 0x0
	v_add_f64_e64 v[44:45], v[44:45], -v[52:53]
	v_mul_f64_e32 v[52:53], s[36:37], v[92:93]
	v_add_f64_e32 v[36:37], v[44:45], v[48:49]
	s_delay_alu instid0(VALU_DEP_2) | instskip(SKIP_3) | instid1(VALU_DEP_4)
	v_add_f64_e32 v[52:53], v[54:55], v[52:53]
	v_mul_f64_e32 v[48:49], s[6:7], v[126:127]
	v_mul_f64_e32 v[44:45], s[30:31], v[152:153]
	;; [unrolled: 1-line block ×3, first 2 shown]
	v_add_f64_e32 v[40:41], v[52:53], v[40:41]
	v_mul_f64_e32 v[52:53], s[6:7], v[108:109]
	v_add_f64_e32 v[48:49], v[150:151], v[48:49]
	v_add_f64_e32 v[44:45], v[215:216], v[44:45]
	v_add_f64_e64 v[54:55], v[54:55], -v[189:190]
	v_add_f64_e32 v[40:41], v[50:51], v[40:41]
	v_add_f64_e64 v[52:53], v[52:53], -v[58:59]
	v_mul_f64_e32 v[58:59], s[30:31], v[88:89]
	v_mul_f64_e32 v[50:51], s[28:29], v[163:164]
	s_delay_alu instid0(VALU_DEP_4) | instskip(NEXT) | instid1(VALU_DEP_4)
	v_add_f64_e32 v[40:41], v[48:49], v[40:41]
	v_add_f64_e32 v[42:43], v[52:53], v[42:43]
	s_delay_alu instid0(VALU_DEP_4)
	v_add_f64_e64 v[58:59], v[58:59], -v[62:63]
	v_mul_f64_e32 v[52:53], s[30:31], v[92:93]
	v_mul_f64_e32 v[48:49], s[28:29], v[142:143]
	v_add_f64_e32 v[50:51], v[154:155], v[50:51]
	v_mul_f64_e32 v[62:63], s[14:15], v[96:97]
	v_add_f64_e32 v[40:41], v[46:47], v[40:41]
	v_add_f64_e32 v[42:43], v[56:57], v[42:43]
	;; [unrolled: 1-line block ×3, first 2 shown]
	scratch_load_b64 v[78:79], off, off offset:504 th:TH_LOAD_LU ; 8-byte Folded Reload
	v_add_f64_e32 v[52:53], v[98:99], v[52:53]
	v_add_f64_e64 v[48:49], v[48:49], -v[110:111]
	v_mul_f64_e32 v[46:47], s[14:15], v[171:172]
	v_add_f64_e64 v[62:63], v[62:63], -v[82:83]
	v_mul_f64_e32 v[56:57], s[36:37], v[120:121]
	v_mul_f64_e32 v[98:99], s[22:23], v[171:172]
	v_add_f64_e32 v[40:41], v[44:45], v[40:41]
	v_add_f64_e32 v[42:43], v[54:55], v[42:43]
	v_mul_f64_e32 v[44:45], s[14:15], v[158:159]
	v_mul_f64_e32 v[54:55], s[20:21], v[134:135]
	v_add_f64_e32 v[52:53], v[52:53], v[76:77]
	v_mul_f64_e32 v[76:77], s[16:17], v[108:109]
	v_add_f64_e32 v[46:47], v[144:145], v[46:47]
	v_add_f64_e64 v[56:57], v[56:57], -v[191:192]
	v_add_f64_e32 v[40:41], v[50:51], v[40:41]
	v_add_f64_e32 v[48:49], v[48:49], v[42:43]
	v_add_f64_e64 v[44:45], v[44:45], -v[90:91]
	v_mul_f64_e32 v[50:51], s[14:15], v[112:113]
	v_add_f64_e64 v[54:55], v[54:55], -v[211:212]
	v_add_f64_e32 v[42:43], v[46:47], v[40:41]
	v_mul_f64_e32 v[46:47], s[36:37], v[138:139]
	v_add_f64_e32 v[40:41], v[44:45], v[48:49]
	v_mul_f64_e32 v[48:49], s[16:17], v[126:127]
	;; [unrolled: 2-line block ×3, first 2 shown]
	v_add_f64_e32 v[46:47], v[219:220], v[46:47]
	s_delay_alu instid0(VALU_DEP_4) | instskip(NEXT) | instid1(VALU_DEP_4)
	v_add_f64_e32 v[48:49], v[201:202], v[48:49]
	v_add_f64_e32 v[50:51], v[50:51], v[52:53]
	;; [unrolled: 1-line block ×4, first 2 shown]
	v_mul_f64_e32 v[58:59], s[6:7], v[163:164]
	v_mul_f64_e32 v[62:63], s[20:21], v[120:121]
	v_add_f64_e32 v[48:49], v[48:49], v[50:51]
	s_delay_alu instid0(VALU_DEP_3) | instskip(NEXT) | instid1(VALU_DEP_3)
	v_add_f64_e32 v[58:59], v[203:204], v[58:59]
	v_add_f64_e64 v[62:63], v[62:63], -v[209:210]
	s_delay_alu instid0(VALU_DEP_3) | instskip(NEXT) | instid1(VALU_DEP_1)
	v_add_f64_e32 v[46:47], v[46:47], v[48:49]
	v_add_f64_e32 v[44:45], v[44:45], v[46:47]
	s_delay_alu instid0(VALU_DEP_1)
	v_add_f64_e32 v[44:45], v[58:59], v[44:45]
	v_mul_f64_e32 v[58:59], s[14:15], v[134:135]
	s_wait_loadcnt 0x0
	v_add_f64_e64 v[76:77], v[76:77], -v[78:79]
	scratch_load_b64 v[78:79], off, off offset:496 th:TH_LOAD_LU ; 8-byte Folded Reload
	v_add_f64_e64 v[58:59], v[58:59], -v[223:224]
	v_add_f64_e32 v[50:51], v[76:77], v[52:53]
	v_mul_f64_e32 v[52:53], s[6:7], v[142:143]
	v_mul_f64_e32 v[76:77], s[22:23], v[88:89]
	s_delay_alu instid0(VALU_DEP_3) | instskip(NEXT) | instid1(VALU_DEP_3)
	v_add_f64_e32 v[48:49], v[56:57], v[50:51]
	v_add_f64_e64 v[52:53], v[52:53], -v[185:186]
	v_mul_f64_e32 v[50:51], s[28:29], v[171:172]
	v_mul_f64_e32 v[56:57], s[22:23], v[92:93]
	s_delay_alu instid0(VALU_DEP_4) | instskip(SKIP_1) | instid1(VALU_DEP_4)
	v_add_f64_e32 v[46:47], v[54:55], v[48:49]
	v_mul_f64_e32 v[48:49], s[28:29], v[158:159]
	v_add_f64_e32 v[50:51], v[199:200], v[50:51]
	v_mul_f64_e32 v[54:55], s[6:7], v[112:113]
	v_add_f64_e32 v[56:57], v[173:174], v[56:57]
	v_add_f64_e32 v[52:53], v[52:53], v[46:47]
	v_add_f64_e64 v[48:49], v[48:49], -v[160:161]
	v_add_f64_e32 v[46:47], v[50:51], v[44:45]
	v_add_f64_e32 v[54:55], v[207:208], v[54:55]
	;; [unrolled: 1-line block ×3, first 2 shown]
	v_mul_f64_e32 v[50:51], s[20:21], v[138:139]
	v_add_f64_e32 v[44:45], v[48:49], v[52:53]
	v_mul_f64_e32 v[52:53], s[30:31], v[126:127]
	v_mul_f64_e32 v[48:49], s[14:15], v[152:153]
	v_add_f64_e32 v[54:55], v[54:55], v[56:57]
	v_add_f64_e32 v[50:51], v[225:226], v[50:51]
	s_delay_alu instid0(VALU_DEP_4) | instskip(NEXT) | instid1(VALU_DEP_4)
	v_add_f64_e32 v[52:53], v[221:222], v[52:53]
	v_add_f64_e32 v[48:49], v[229:230], v[48:49]
	s_delay_alu instid0(VALU_DEP_2) | instskip(NEXT) | instid1(VALU_DEP_1)
	v_add_f64_e32 v[52:53], v[52:53], v[54:55]
	v_add_f64_e32 v[50:51], v[50:51], v[52:53]
	s_wait_loadcnt 0x0
	v_add_f64_e64 v[76:77], v[76:77], -v[78:79]
	v_mul_f64_e32 v[78:79], s[6:7], v[96:97]
	s_delay_alu instid0(VALU_DEP_3) | instskip(NEXT) | instid1(VALU_DEP_3)
	v_add_f64_e32 v[48:49], v[48:49], v[50:51]
	v_add_f64_e32 v[72:73], v[76:77], v[74:75]
	s_delay_alu instid0(VALU_DEP_3) | instskip(SKIP_1) | instid1(VALU_DEP_2)
	v_add_f64_e64 v[78:79], v[78:79], -v[128:129]
	v_mul_f64_e32 v[74:75], s[30:31], v[108:109]
	v_add_f64_e32 v[56:57], v[78:79], v[72:73]
	s_delay_alu instid0(VALU_DEP_2) | instskip(SKIP_1) | instid1(VALU_DEP_2)
	v_add_f64_e64 v[74:75], v[74:75], -v[140:141]
	v_mul_f64_e32 v[72:73], s[36:37], v[163:164]
	v_add_f64_e32 v[54:55], v[74:75], v[56:57]
	v_mul_f64_e32 v[56:57], s[36:37], v[142:143]
	s_delay_alu instid0(VALU_DEP_3) | instskip(NEXT) | instid1(VALU_DEP_3)
	v_add_f64_e32 v[72:73], v[217:218], v[72:73]
	v_add_f64_e32 v[52:53], v[62:63], v[54:55]
	s_delay_alu instid0(VALU_DEP_3) | instskip(SKIP_1) | instid1(VALU_DEP_4)
	v_add_f64_e64 v[56:57], v[56:57], -v[205:206]
	v_mul_f64_e32 v[54:55], s[16:17], v[171:172]
	v_add_f64_e32 v[48:49], v[72:73], v[48:49]
	s_delay_alu instid0(VALU_DEP_4) | instskip(SKIP_1) | instid1(VALU_DEP_4)
	v_add_f64_e32 v[50:51], v[58:59], v[52:53]
	v_mul_f64_e32 v[52:53], s[16:17], v[158:159]
	v_add_f64_e32 v[54:55], v[213:214], v[54:55]
	v_mul_f64_e32 v[58:59], s[44:45], v[104:105]
	s_delay_alu instid0(VALU_DEP_4) | instskip(NEXT) | instid1(VALU_DEP_4)
	v_add_f64_e32 v[56:57], v[56:57], v[50:51]
	v_add_f64_e64 v[52:53], v[52:53], -v[193:194]
	s_delay_alu instid0(VALU_DEP_4) | instskip(NEXT) | instid1(VALU_DEP_4)
	v_add_f64_e32 v[50:51], v[54:55], v[48:49]
	v_fma_f64 v[54:55], v[88:89], s[16:17], -v[58:59]
	v_fma_f64 v[58:59], v[88:89], s[16:17], v[58:59]
	s_delay_alu instid0(VALU_DEP_4) | instskip(SKIP_1) | instid1(VALU_DEP_4)
	v_add_f64_e32 v[48:49], v[52:53], v[56:57]
	v_mul_f64_e32 v[56:57], s[16:17], v[92:93]
	v_add_f64_e32 v[54:55], v[54:55], v[60:61]
	v_mul_f64_e32 v[60:61], s[20:21], v[112:113]
	v_add_f64_e32 v[58:59], v[58:59], v[64:65]
	scratch_load_b64 v[64:65], off, off offset:144 th:TH_LOAD_LU ; 8-byte Folded Reload
	v_fma_f64 v[52:53], v[106:107], s[44:45], v[56:57]
	v_fma_f64 v[56:57], v[106:107], s[18:19], v[56:57]
	v_fma_f64 v[62:63], v[118:119], s[24:25], v[60:61]
	v_fma_f64 v[60:61], v[118:119], s[52:53], v[60:61]
	s_delay_alu instid0(VALU_DEP_4) | instskip(NEXT) | instid1(VALU_DEP_4)
	v_add_f64_e32 v[52:53], v[52:53], v[70:71]
	v_add_f64_e32 v[56:57], v[56:57], v[68:69]
	scratch_load_b64 v[68:69], off, off offset:112 th:TH_LOAD_LU ; 8-byte Folded Reload
	v_add_f64_e32 v[52:53], v[62:63], v[52:53]
	v_mul_f64_e32 v[62:63], s[24:25], v[116:117]
	v_add_f64_e32 v[56:57], v[60:61], v[56:57]
	s_delay_alu instid0(VALU_DEP_2) | instskip(SKIP_2) | instid1(VALU_DEP_3)
	v_fma_f64 v[70:71], v[96:97], s[20:21], -v[62:63]
	v_fma_f64 v[60:61], v[96:97], s[20:21], v[62:63]
	v_fma_f64 v[62:63], v[158:159], s[22:23], v[94:95]
	v_add_f64_e32 v[54:55], v[70:71], v[54:55]
	v_mul_f64_e32 v[70:71], s[28:29], v[126:127]
	s_delay_alu instid0(VALU_DEP_4) | instskip(NEXT) | instid1(VALU_DEP_2)
	v_add_f64_e32 v[58:59], v[60:61], v[58:59]
	v_fma_f64 v[72:73], v[130:131], s[50:51], v[70:71]
	v_fma_f64 v[70:71], v[130:131], s[34:35], v[70:71]
	s_delay_alu instid0(VALU_DEP_2) | instskip(SKIP_1) | instid1(VALU_DEP_3)
	v_add_f64_e32 v[52:53], v[72:73], v[52:53]
	v_mul_f64_e32 v[72:73], s[50:51], v[124:125]
	v_add_f64_e32 v[56:57], v[70:71], v[56:57]
	scratch_load_b64 v[70:71], off, off offset:80 th:TH_LOAD_LU ; 8-byte Folded Reload
	v_fma_f64 v[74:75], v[108:109], s[28:29], -v[72:73]
	v_fma_f64 v[60:61], v[108:109], s[28:29], v[72:73]
	scratch_load_b64 v[72:73], off, off offset:32 th:TH_LOAD_LU ; 8-byte Folded Reload
	v_add_f64_e32 v[54:55], v[74:75], v[54:55]
	v_mul_f64_e32 v[74:75], s[6:7], v[138:139]
	v_add_f64_e32 v[58:59], v[60:61], v[58:59]
	s_delay_alu instid0(VALU_DEP_2) | instskip(SKIP_1) | instid1(VALU_DEP_2)
	v_fma_f64 v[76:77], v[146:147], s[0:1], v[74:75]
	v_fma_f64 v[74:75], v[146:147], s[42:43], v[74:75]
	v_add_f64_e32 v[52:53], v[76:77], v[52:53]
	v_mul_f64_e32 v[76:77], s[0:1], v[132:133]
	s_delay_alu instid0(VALU_DEP_3) | instskip(SKIP_3) | instid1(VALU_DEP_2)
	v_add_f64_e32 v[56:57], v[74:75], v[56:57]
	scratch_load_b64 v[74:75], off, off offset:128 th:TH_LOAD_LU ; 8-byte Folded Reload
	v_fma_f64 v[78:79], v[120:121], s[6:7], -v[76:77]
	v_fma_f64 v[60:61], v[120:121], s[6:7], v[76:77]
	v_add_f64_e32 v[54:55], v[78:79], v[54:55]
	v_mul_f64_e32 v[78:79], s[36:37], v[152:153]
	s_delay_alu instid0(VALU_DEP_3) | instskip(NEXT) | instid1(VALU_DEP_2)
	v_add_f64_e32 v[58:59], v[60:61], v[58:59]
	v_fma_f64 v[82:83], v[169:170], s[38:39], v[78:79]
	v_fma_f64 v[78:79], v[169:170], s[46:47], v[78:79]
	s_delay_alu instid0(VALU_DEP_2) | instskip(SKIP_1) | instid1(VALU_DEP_3)
	v_add_f64_e32 v[52:53], v[82:83], v[52:53]
	v_mul_f64_e32 v[82:83], s[38:39], v[167:168]
	v_add_f64_e32 v[56:57], v[78:79], v[56:57]
	scratch_load_b64 v[78:79], off, off offset:48 th:TH_LOAD_LU ; 8-byte Folded Reload
	v_fma_f64 v[84:85], v[134:135], s[36:37], -v[82:83]
	v_fma_f64 v[60:61], v[134:135], s[36:37], v[82:83]
	s_clause 0x1
	scratch_load_b64 v[82:83], off, off offset:64 th:TH_LOAD_LU
	scratch_load_b64 v[76:77], off, off offset:16 th:TH_LOAD_LU
	v_add_f64_e32 v[54:55], v[84:85], v[54:55]
	v_mul_f64_e32 v[84:85], s[14:15], v[163:164]
	v_add_f64_e32 v[58:59], v[60:61], v[58:59]
	s_delay_alu instid0(VALU_DEP_2) | instskip(SKIP_1) | instid1(VALU_DEP_2)
	v_fma_f64 v[86:87], v[177:178], s[48:49], v[84:85]
	v_fma_f64 v[84:85], v[177:178], s[10:11], v[84:85]
	v_add_f64_e32 v[52:53], v[86:87], v[52:53]
	v_mul_f64_e32 v[86:87], s[48:49], v[175:176]
	s_delay_alu instid0(VALU_DEP_3) | instskip(NEXT) | instid1(VALU_DEP_2)
	v_add_f64_e32 v[56:57], v[84:85], v[56:57]
	v_fma_f64 v[90:91], v[142:143], s[14:15], -v[86:87]
	v_fma_f64 v[60:61], v[142:143], s[14:15], v[86:87]
	s_delay_alu instid0(VALU_DEP_2) | instskip(SKIP_1) | instid1(VALU_DEP_3)
	v_add_f64_e32 v[90:91], v[90:91], v[54:55]
	v_fma_f64 v[54:55], v[181:182], s[26:27], v[98:99]
	v_add_f64_e32 v[60:61], v[60:61], v[58:59]
	s_delay_alu instid0(VALU_DEP_2) | instskip(SKIP_1) | instid1(VALU_DEP_1)
	v_add_f64_e32 v[54:55], v[54:55], v[52:53]
	v_fma_f64 v[52:53], v[158:159], s[22:23], -v[94:95]
	v_add_f64_e32 v[52:53], v[52:53], v[90:91]
	v_fma_f64 v[90:91], v[181:182], s[40:41], v[98:99]
	s_delay_alu instid0(VALU_DEP_1) | instskip(SKIP_4) | instid1(VALU_DEP_1)
	v_add_f64_e32 v[58:59], v[90:91], v[56:57]
	v_add_f64_e32 v[56:57], v[62:63], v[60:61]
	scratch_load_b64 v[62:63], off, off offset:192 th:TH_LOAD_LU ; 8-byte Folded Reload
	v_mul_f64_e32 v[60:61], s[28:29], v[152:153]
	s_wait_loadcnt 0x0
	v_add_f64_e32 v[60:61], v[62:63], v[60:61]
	v_mul_f64_e32 v[62:63], s[22:23], v[138:139]
	s_delay_alu instid0(VALU_DEP_1) | instskip(SKIP_1) | instid1(VALU_DEP_1)
	v_add_f64_e32 v[62:63], v[64:65], v[62:63]
	v_mul_f64_e32 v[64:65], s[20:21], v[126:127]
	v_add_f64_e32 v[64:65], v[68:69], v[64:65]
	v_mul_f64_e32 v[68:69], s[16:17], v[112:113]
	s_delay_alu instid0(VALU_DEP_1) | instskip(SKIP_1) | instid1(VALU_DEP_1)
	v_add_f64_e32 v[68:69], v[70:71], v[68:69]
	v_mul_f64_e32 v[70:71], s[14:15], v[92:93]
	v_add_f64_e32 v[70:71], v[72:73], v[70:71]
	v_mul_f64_e32 v[72:73], s[28:29], v[134:135]
	s_delay_alu instid0(VALU_DEP_2)
	v_add_f64_e32 v[70:71], v[70:71], v[80:81]
	scratch_load_b64 v[80:81], off, off offset:96 th:TH_LOAD_LU ; 8-byte Folded Reload
	v_add_f64_e64 v[72:73], v[72:73], -v[74:75]
	v_mul_f64_e32 v[74:75], s[14:15], v[88:89]
	v_add_f64_e32 v[68:69], v[68:69], v[70:71]
	v_mul_f64_e32 v[70:71], s[30:31], v[163:164]
	s_delay_alu instid0(VALU_DEP_3) | instskip(SKIP_1) | instid1(VALU_DEP_4)
	v_add_f64_e64 v[74:75], v[74:75], -v[76:77]
	v_mul_f64_e32 v[76:77], s[16:17], v[96:97]
	v_add_f64_e32 v[64:65], v[64:65], v[68:69]
	v_mul_f64_e32 v[68:69], s[30:31], v[142:143]
	s_delay_alu instid0(VALU_DEP_4) | instskip(NEXT) | instid1(VALU_DEP_4)
	v_add_f64_e32 v[66:67], v[74:75], v[66:67]
	v_add_f64_e64 v[76:77], v[76:77], -v[78:79]
	v_mul_f64_e32 v[78:79], s[20:21], v[108:109]
	v_mul_f64_e32 v[74:75], s[22:23], v[120:121]
	v_add_f64_e32 v[62:63], v[62:63], v[64:65]
	s_delay_alu instid0(VALU_DEP_4) | instskip(SKIP_3) | instid1(VALU_DEP_2)
	v_add_f64_e32 v[66:67], v[76:77], v[66:67]
	scratch_load_b64 v[76:77], off, off offset:224 th:TH_LOAD_LU ; 8-byte Folded Reload
	v_add_f64_e64 v[78:79], v[78:79], -v[82:83]
	v_add_f64_e32 v[60:61], v[60:61], v[62:63]
	v_add_f64_e32 v[66:67], v[78:79], v[66:67]
	s_wait_loadcnt 0x1
	v_add_f64_e64 v[74:75], v[74:75], -v[80:81]
	s_delay_alu instid0(VALU_DEP_1)
	v_add_f64_e32 v[64:65], v[74:75], v[66:67]
	scratch_load_b64 v[74:75], off, off offset:232 th:TH_LOAD_LU ; 8-byte Folded Reload
	v_mul_f64_e32 v[66:67], s[36:37], v[171:172]
	v_add_f64_e32 v[62:63], v[72:73], v[64:65]
	scratch_load_b64 v[72:73], off, off offset:208 th:TH_LOAD_LU ; 8-byte Folded Reload
	v_mul_f64_e32 v[64:65], s[36:37], v[158:159]
	s_wait_loadcnt 0x2
	v_add_f64_e32 v[70:71], v[76:77], v[70:71]
	scratch_load_b64 v[76:77], off, off offset:160 th:TH_LOAD_LU ; 8-byte Folded Reload
	v_add_f64_e32 v[60:61], v[70:71], v[60:61]
	s_wait_loadcnt 0x2
	v_add_f64_e32 v[66:67], v[74:75], v[66:67]
	s_wait_loadcnt 0x1
	v_add_f64_e64 v[64:65], v[64:65], -v[72:73]
	s_wait_loadcnt 0x0
	v_add_f64_e64 v[68:69], v[68:69], -v[76:77]
	s_delay_alu instid0(VALU_DEP_1) | instskip(NEXT) | instid1(VALU_DEP_4)
	v_add_f64_e32 v[68:69], v[68:69], v[62:63]
	v_add_f64_e32 v[62:63], v[66:67], v[60:61]
	s_delay_alu instid0(VALU_DEP_2) | instskip(SKIP_3) | instid1(VALU_DEP_1)
	v_add_f64_e32 v[60:61], v[64:65], v[68:69]
	scratch_load_b32 v64, off, off          ; 4-byte Folded Reload
	s_wait_loadcnt 0x0
	v_mul_lo_u16 v64, v64, 17
	v_and_b32_e32 v64, 0xffff, v64
	s_delay_alu instid0(VALU_DEP_1)
	v_add_lshl_u32 v64, v162, v64, 4
	ds_store_b128 v64, v[32:35] offset:32
	ds_store_b128 v64, v[36:39] offset:48
	ds_store_b128 v64, v[40:43] offset:64
	ds_store_b128 v64, v[44:47] offset:80
	ds_store_b128 v64, v[48:51] offset:96
	ds_store_b128 v64, v[52:55] offset:112
	ds_store_b128 v64, v[28:31] offset:128
	ds_store_b128 v64, v[16:19] offset:192
	ds_store_b128 v64, v[12:15] offset:208
	ds_store_b128 v64, v[8:11] offset:224
	ds_store_b128 v64, v[4:7] offset:240
	ds_store_b128 v64, v[20:23] offset:144
	ds_store_b128 v64, v[56:59] offset:160
	ds_store_b128 v64, v[100:103] offset:176
	ds_store_b128 v64, v[60:63] offset:16
	ds_store_b128 v64, v[24:27]
	ds_store_b128 v64, v[0:3] offset:256
.LBB0_7:
	s_or_b32 exec_lo, exec_lo, s33
	scratch_load_b32 v21, off, off          ; 4-byte Folded Reload
	s_load_b128 s[4:7], s[4:5], 0x0
	global_wb scope:SCOPE_SE
	s_wait_loadcnt_dscnt 0x0
	s_wait_kmcnt 0x0
	s_barrier_signal -1
	s_barrier_wait -1
	global_inv scope:SCOPE_SE
	s_mov_b32 s28, 0xf8bb580b
	s_mov_b32 s22, 0x43842ef
	s_mov_b32 s20, 0xbb3a28a1
	s_mov_b32 s18, 0xfd768dbf
	s_mov_b32 s29, 0xbfe14ced
	s_mov_b32 s27, 0xbfed1bb4
	s_mov_b32 s26, 0x8eee2c13
	s_mov_b32 s23, 0xbfefac9e
	s_mov_b32 s21, 0xbfe82f19
	s_mov_b32 s19, 0xbfd207e7
	s_mov_b32 s24, 0x8764f0ba
	s_mov_b32 s14, 0xd9c712b6
	s_mov_b32 s16, 0x640f44db
	s_mov_b32 s10, 0x7f775887
	s_mov_b32 s0, 0x9bcd5057
	s_mov_b32 s25, 0x3feaeb8c
	s_mov_b32 s15, 0x3fda9628
	s_mov_b32 s17, 0xbfc2375f
	s_mov_b32 s11, 0xbfe4f49e
	s_mov_b32 s1, 0xbfeeb42a
	s_mov_b32 s31, 0x3fd207e7
	s_wait_alu 0xfffe
	s_mov_b32 s30, s18
	s_mov_b32 s35, 0x3fefac9e
	;; [unrolled: 1-line block ×5, first 2 shown]
	v_and_b32_e32 v20, 0xff, v21
	v_add_lshl_u32 v160, v162, v21, 4
	s_delay_alu instid0(VALU_DEP_2) | instskip(NEXT) | instid1(VALU_DEP_1)
	v_mul_lo_u16 v20, 0xf1, v20
	v_lshrrev_b16 v44, 12, v20
	s_delay_alu instid0(VALU_DEP_1) | instskip(NEXT) | instid1(VALU_DEP_1)
	v_mul_lo_u16 v20, v44, 17
	v_sub_nc_u16 v20, v21, v20
	s_delay_alu instid0(VALU_DEP_1) | instskip(NEXT) | instid1(VALU_DEP_1)
	v_and_b32_e32 v45, 0xff, v20
	v_mul_u32_u24_e32 v20, 10, v45
	s_delay_alu instid0(VALU_DEP_1)
	v_lshlrev_b32_e32 v46, 4, v20
	v_and_b32_e32 v20, 0xffff, v44
	s_clause 0x3
	global_load_b128 v[26:29], v46, s[2:3]
	global_load_b128 v[22:25], v46, s[2:3] offset:144
	global_load_b128 v[30:33], v46, s[2:3] offset:16
	;; [unrolled: 1-line block ×3, first 2 shown]
	ds_load_b128 v[40:43], v160 offset:1632
	ds_load_b128 v[36:39], v160 offset:16320
	ds_load_b128 v[47:50], v160
	v_mul_u32_u24_e32 v20, 0xbb, v20
	s_delay_alu instid0(VALU_DEP_1) | instskip(NEXT) | instid1(VALU_DEP_1)
	v_add_nc_u32_e32 v20, v20, v45
	v_add_lshl_u32 v250, v162, v20, 4
	s_wait_loadcnt_dscnt 0x302
	v_mul_f64_e32 v[51:52], v[42:43], v[28:29]
	v_mul_f64_e32 v[53:54], v[40:41], v[28:29]
	s_wait_loadcnt_dscnt 0x201
	v_mul_f64_e32 v[55:56], v[36:37], v[24:25]
	v_mul_f64_e32 v[57:58], v[38:39], v[24:25]
	s_clause 0x1
	scratch_store_b128 off, v[26:29], off offset:32
	scratch_store_b128 off, v[22:25], off offset:16
	s_wait_loadcnt 0x1
	scratch_store_b128 off, v[30:33], off offset:48 ; 16-byte Folded Spill
	v_fma_f64 v[59:60], v[40:41], v[26:27], -v[51:52]
	v_fma_f64 v[61:62], v[42:43], v[26:27], v[53:54]
	ds_load_b128 v[40:43], v160 offset:3264
	v_fma_f64 v[63:64], v[38:39], v[22:23], v[55:56]
	v_fma_f64 v[65:66], v[36:37], v[22:23], -v[57:58]
	ds_load_b128 v[36:39], v160 offset:4896
	s_wait_dscnt 0x1
	v_mul_f64_e32 v[51:52], v[42:43], v[32:33]
	v_add_f64_e32 v[134:135], v[61:62], v[63:64]
	s_delay_alu instid0(VALU_DEP_2) | instskip(SKIP_1) | instid1(VALU_DEP_1)
	v_fma_f64 v[67:68], v[40:41], v[30:31], -v[51:52]
	v_mul_f64_e32 v[40:41], v[40:41], v[32:33]
	v_fma_f64 v[69:70], v[42:43], v[30:31], v[40:41]
	ds_load_b128 v[40:43], v160 offset:14688
	ds_load_b128 v[51:54], v160 offset:13056
	s_wait_loadcnt 0x0
	scratch_store_b128 off, v[73:76], off offset:64 ; 16-byte Folded Spill
	s_wait_dscnt 0x1
	v_mul_f64_e32 v[55:56], v[40:41], v[75:76]
	s_delay_alu instid0(VALU_DEP_1)
	v_fma_f64 v[71:72], v[42:43], v[73:74], v[55:56]
	v_mul_f64_e32 v[42:43], v[42:43], v[75:76]
	s_clause 0x3
	global_load_b128 v[80:83], v46, s[2:3] offset:32
	global_load_b128 v[76:79], v46, s[2:3] offset:48
	;; [unrolled: 1-line block ×4, first 2 shown]
	v_add_f64_e32 v[171:172], v[69:70], v[71:72]
	v_fma_f64 v[73:74], v[40:41], v[73:74], -v[42:43]
	s_delay_alu instid0(VALU_DEP_1) | instskip(SKIP_2) | instid1(VALU_DEP_1)
	v_add_f64_e32 v[167:168], v[67:68], v[73:74]
	s_wait_loadcnt 0x3
	v_mul_f64_e32 v[40:41], v[38:39], v[82:83]
	v_fma_f64 v[116:117], v[36:37], v[80:81], -v[40:41]
	v_mul_f64_e32 v[36:37], v[36:37], v[82:83]
	s_delay_alu instid0(VALU_DEP_1) | instskip(SKIP_2) | instid1(VALU_DEP_1)
	v_fma_f64 v[118:119], v[38:39], v[80:81], v[36:37]
	s_wait_loadcnt_dscnt 0x100
	v_mul_f64_e32 v[36:37], v[51:52], v[90:91]
	v_fma_f64 v[120:121], v[53:54], v[88:89], v[36:37]
	v_mul_f64_e32 v[36:37], v[53:54], v[90:91]
	s_delay_alu instid0(VALU_DEP_2) | instskip(NEXT) | instid1(VALU_DEP_2)
	v_add_f64_e32 v[181:182], v[118:119], v[120:121]
	v_fma_f64 v[122:123], v[51:52], v[88:89], -v[36:37]
	ds_load_b128 v[36:39], v160 offset:6528
	ds_load_b128 v[40:43], v160 offset:8160
	s_wait_dscnt 0x1
	v_mul_f64_e32 v[51:52], v[38:39], v[78:79]
	v_add_f64_e32 v[175:176], v[116:117], v[122:123]
	v_add_f64_e64 v[179:180], v[116:117], -v[122:123]
	s_delay_alu instid0(VALU_DEP_3) | instskip(SKIP_2) | instid1(VALU_DEP_3)
	v_fma_f64 v[124:125], v[36:37], v[76:77], -v[51:52]
	v_mul_f64_e32 v[36:37], v[36:37], v[78:79]
	s_wait_alu 0xfffe
	v_mul_f64_e32 v[183:184], s[30:31], v[179:180]
	v_mul_f64_e32 v[229:230], s[28:29], v[179:180]
	s_delay_alu instid0(VALU_DEP_3)
	v_fma_f64 v[126:127], v[38:39], v[76:77], v[36:37]
	ds_load_b128 v[36:39], v160 offset:11424
	ds_load_b128 v[51:54], v160 offset:9792
	s_clause 0x1
	global_load_b128 v[96:99], v46, s[2:3] offset:64
	global_load_b128 v[92:95], v46, s[2:3] offset:80
	global_wb scope:SCOPE_SE
	s_wait_storecnt 0x0
	s_wait_loadcnt_dscnt 0x0
	s_barrier_signal -1
	s_barrier_wait -1
	global_inv scope:SCOPE_SE
	v_mul_f64_e32 v[55:56], v[38:39], v[86:87]
	s_delay_alu instid0(VALU_DEP_1) | instskip(SKIP_1) | instid1(VALU_DEP_2)
	v_fma_f64 v[128:129], v[36:37], v[84:85], -v[55:56]
	v_mul_f64_e32 v[36:37], v[36:37], v[86:87]
	v_add_f64_e32 v[187:188], v[124:125], v[128:129]
	s_delay_alu instid0(VALU_DEP_2) | instskip(SKIP_1) | instid1(VALU_DEP_2)
	v_fma_f64 v[130:131], v[38:39], v[84:85], v[36:37]
	v_add_f64_e64 v[191:192], v[124:125], -v[128:129]
	v_add_f64_e64 v[185:186], v[126:127], -v[130:131]
	v_add_f64_e32 v[193:194], v[126:127], v[130:131]
	s_delay_alu instid0(VALU_DEP_3)
	v_mul_f64_e32 v[195:196], s[34:35], v[191:192]
	v_mul_f64_e32 v[223:224], s[28:29], v[191:192]
	;; [unrolled: 1-line block ×7, first 2 shown]
	s_delay_alu instid0(VALU_DEP_1) | instskip(SKIP_1) | instid1(VALU_DEP_1)
	v_fma_f64 v[136:137], v[40:41], v[96:97], -v[36:37]
	v_mul_f64_e32 v[36:37], v[40:41], v[98:99]
	v_fma_f64 v[138:139], v[42:43], v[96:97], v[36:37]
	v_mul_f64_e32 v[36:37], v[53:54], v[94:95]
	s_delay_alu instid0(VALU_DEP_1) | instskip(SKIP_1) | instid1(VALU_DEP_2)
	v_fma_f64 v[140:141], v[51:52], v[92:93], -v[36:37]
	v_mul_f64_e32 v[36:37], v[51:52], v[94:95]
	v_add_f64_e32 v[199:200], v[136:137], v[140:141]
	s_delay_alu instid0(VALU_DEP_2)
	v_fma_f64 v[142:143], v[53:54], v[92:93], v[36:37]
	v_add_f64_e64 v[36:37], v[61:62], -v[63:64]
	v_add_f64_e32 v[53:54], v[59:60], v[65:66]
	v_add_f64_e64 v[203:204], v[136:137], -v[140:141]
	v_add_f64_e32 v[61:62], v[49:50], v[61:62]
	v_add_f64_e64 v[197:198], v[138:139], -v[142:143]
	v_mul_f64_e32 v[38:39], s[28:29], v[36:37]
	v_mul_f64_e32 v[40:41], s[26:27], v[36:37]
	;; [unrolled: 1-line block ×5, first 2 shown]
	v_add_f64_e32 v[205:206], v[138:139], v[142:143]
	v_mul_f64_e32 v[207:208], s[36:37], v[203:204]
	v_mul_f64_e32 v[227:228], s[20:21], v[203:204]
	;; [unrolled: 1-line block ×3, first 2 shown]
	v_fma_f64 v[55:56], v[53:54], s[24:25], -v[38:39]
	v_fma_f64 v[38:39], v[53:54], s[24:25], v[38:39]
	v_fma_f64 v[57:58], v[53:54], s[14:15], -v[40:41]
	v_fma_f64 v[40:41], v[53:54], s[14:15], v[40:41]
	;; [unrolled: 2-line block ×5, first 2 shown]
	v_add_f64_e64 v[53:54], v[59:60], -v[65:66]
	v_add_f64_e32 v[59:60], v[47:48], v[59:60]
	v_mul_f64_e32 v[225:226], s[20:21], v[197:198]
	v_add_f64_e32 v[55:56], v[47:48], v[55:56]
	v_add_f64_e32 v[154:155], v[47:48], v[38:39]
	;; [unrolled: 1-line block ×4, first 2 shown]
	v_mul_f64_e32 v[110:111], s[28:29], v[53:54]
	v_mul_f64_e32 v[112:113], s[26:27], v[53:54]
	;; [unrolled: 1-line block ×5, first 2 shown]
	v_fma_f64 v[152:153], v[134:135], s[24:25], -v[110:111]
	v_fma_f64 v[110:111], v[134:135], s[24:25], v[110:111]
	v_fma_f64 v[146:147], v[134:135], s[16:17], v[114:115]
	;; [unrolled: 1-line block ×4, first 2 shown]
	v_fma_f64 v[53:54], v[134:135], s[0:1], -v[53:54]
	v_fma_f64 v[144:145], v[134:135], s[14:15], v[112:113]
	v_fma_f64 v[112:113], v[134:135], s[14:15], -v[112:113]
	v_fma_f64 v[114:115], v[134:135], s[16:17], -v[114:115]
	;; [unrolled: 1-line block ×3, first 2 shown]
	v_add_f64_e32 v[134:135], v[47:48], v[40:41]
	v_add_f64_e32 v[40:41], v[47:48], v[104:105]
	;; [unrolled: 1-line block ×4, first 2 shown]
	v_add_f64_e64 v[110:111], v[67:68], -v[73:74]
	v_add_f64_e32 v[104:105], v[49:50], v[146:147]
	v_add_f64_e32 v[146:147], v[49:50], v[148:149]
	;; [unrolled: 1-line block ×3, first 2 shown]
	v_add_f64_e64 v[53:54], v[69:70], -v[71:72]
	v_add_f64_e32 v[148:149], v[47:48], v[51:52]
	v_add_f64_e32 v[51:52], v[47:48], v[108:109]
	;; [unrolled: 1-line block ×9, first 2 shown]
	v_mul_f64_e32 v[173:174], s[20:21], v[110:111]
	v_mul_f64_e32 v[215:216], s[26:27], v[110:111]
	;; [unrolled: 1-line block ×7, first 2 shown]
	s_mov_b32 s27, 0x3fed1bb4
	v_mul_f64_e32 v[112:113], s[34:35], v[53:54]
	s_wait_alu 0xfffe
	v_mul_f64_e32 v[219:220], s[26:27], v[179:180]
	v_mul_f64_e32 v[235:236], s[26:27], v[197:198]
	;; [unrolled: 1-line block ×3, first 2 shown]
	v_fma_f64 v[48:49], v[171:172], s[16:17], v[114:115]
	v_fma_f64 v[36:37], v[167:168], s[10:11], -v[169:170]
	s_delay_alu instid0(VALU_DEP_2) | instskip(NEXT) | instid1(VALU_DEP_2)
	v_add_f64_e32 v[48:49], v[48:49], v[146:147]
	v_add_f64_e32 v[36:37], v[36:37], v[38:39]
	v_fma_f64 v[38:39], v[171:172], s[10:11], v[173:174]
	s_delay_alu instid0(VALU_DEP_1) | instskip(SKIP_1) | instid1(VALU_DEP_1)
	v_add_f64_e32 v[38:39], v[38:39], v[57:58]
	v_add_f64_e64 v[57:58], v[118:119], -v[120:121]
	v_mul_f64_e32 v[177:178], s[30:31], v[57:58]
	v_mul_f64_e32 v[217:218], s[26:27], v[57:58]
	;; [unrolled: 1-line block ×3, first 2 shown]
	s_delay_alu instid0(VALU_DEP_3) | instskip(NEXT) | instid1(VALU_DEP_3)
	v_fma_f64 v[42:43], v[175:176], s[0:1], -v[177:178]
	v_fma_f64 v[46:47], v[175:176], s[14:15], -v[217:218]
	s_delay_alu instid0(VALU_DEP_2) | instskip(SKIP_1) | instid1(VALU_DEP_1)
	v_add_f64_e32 v[36:37], v[42:43], v[36:37]
	v_fma_f64 v[42:43], v[181:182], s[0:1], v[183:184]
	v_add_f64_e32 v[38:39], v[42:43], v[38:39]
	v_fma_f64 v[42:43], v[187:188], s[16:17], -v[189:190]
	s_delay_alu instid0(VALU_DEP_1) | instskip(SKIP_1) | instid1(VALU_DEP_1)
	v_add_f64_e32 v[36:37], v[42:43], v[36:37]
	v_fma_f64 v[42:43], v[193:194], s[16:17], v[195:196]
	v_add_f64_e32 v[38:39], v[42:43], v[38:39]
	v_fma_f64 v[42:43], v[199:200], s[24:25], -v[201:202]
	s_delay_alu instid0(VALU_DEP_1) | instskip(SKIP_1) | instid1(VALU_DEP_1)
	v_add_f64_e32 v[36:37], v[42:43], v[36:37]
	v_fma_f64 v[42:43], v[205:206], s[24:25], v[207:208]
	v_add_f64_e32 v[38:39], v[42:43], v[38:39]
	v_fma_f64 v[42:43], v[167:168], s[0:1], -v[209:210]
	s_delay_alu instid0(VALU_DEP_1) | instskip(SKIP_1) | instid1(VALU_DEP_2)
	v_add_f64_e32 v[40:41], v[42:43], v[40:41]
	v_fma_f64 v[42:43], v[171:172], s[0:1], v[211:212]
	v_add_f64_e32 v[40:41], v[46:47], v[40:41]
	s_delay_alu instid0(VALU_DEP_2) | instskip(SKIP_2) | instid1(VALU_DEP_2)
	v_add_f64_e32 v[42:43], v[42:43], v[104:105]
	v_fma_f64 v[46:47], v[181:182], s[14:15], v[219:220]
	v_fma_f64 v[104:105], v[175:176], s[24:25], -v[146:147]
	v_add_f64_e32 v[42:43], v[46:47], v[42:43]
	v_fma_f64 v[46:47], v[187:188], s[24:25], -v[221:222]
	s_delay_alu instid0(VALU_DEP_1) | instskip(SKIP_1) | instid1(VALU_DEP_1)
	v_add_f64_e32 v[40:41], v[46:47], v[40:41]
	v_fma_f64 v[46:47], v[193:194], s[24:25], v[223:224]
	v_add_f64_e32 v[42:43], v[46:47], v[42:43]
	v_fma_f64 v[46:47], v[199:200], s[10:11], -v[225:226]
	s_delay_alu instid0(VALU_DEP_1) | instskip(SKIP_1) | instid1(VALU_DEP_1)
	v_add_f64_e32 v[40:41], v[46:47], v[40:41]
	v_fma_f64 v[46:47], v[205:206], s[10:11], v[227:228]
	v_add_f64_e32 v[42:43], v[46:47], v[42:43]
	v_fma_f64 v[46:47], v[167:168], s[16:17], -v[112:113]
	s_delay_alu instid0(VALU_DEP_1) | instskip(SKIP_1) | instid1(VALU_DEP_2)
	v_add_f64_e32 v[46:47], v[46:47], v[106:107]
	v_mul_f64_e32 v[106:107], s[36:37], v[110:111]
	v_add_f64_e32 v[46:47], v[104:105], v[46:47]
	v_fma_f64 v[104:105], v[181:182], s[24:25], v[229:230]
	s_delay_alu instid0(VALU_DEP_1) | instskip(SKIP_1) | instid1(VALU_DEP_1)
	v_add_f64_e32 v[48:49], v[104:105], v[48:49]
	v_fma_f64 v[104:105], v[187:188], s[0:1], -v[231:232]
	v_add_f64_e32 v[46:47], v[104:105], v[46:47]
	v_fma_f64 v[104:105], v[193:194], s[0:1], v[233:234]
	s_delay_alu instid0(VALU_DEP_1) | instskip(SKIP_1) | instid1(VALU_DEP_1)
	v_add_f64_e32 v[48:49], v[104:105], v[48:49]
	v_fma_f64 v[104:105], v[199:200], s[14:15], -v[235:236]
	v_add_f64_e32 v[46:47], v[104:105], v[46:47]
	v_fma_f64 v[104:105], v[205:206], s[14:15], v[237:238]
	s_delay_alu instid0(VALU_DEP_1) | instskip(SKIP_1) | instid1(VALU_DEP_1)
	v_add_f64_e32 v[48:49], v[104:105], v[48:49]
	v_mul_f64_e32 v[104:105], s[36:37], v[53:54]
	v_fma_f64 v[53:54], v[167:168], s[24:25], -v[104:105]
	v_fma_f64 v[104:105], v[167:168], s[24:25], v[104:105]
	s_delay_alu instid0(VALU_DEP_2) | instskip(SKIP_1) | instid1(VALU_DEP_3)
	v_add_f64_e32 v[50:51], v[53:54], v[51:52]
	v_fma_f64 v[52:53], v[171:172], s[24:25], v[106:107]
	v_add_f64_e32 v[104:105], v[104:105], v[150:151]
	v_fma_f64 v[106:107], v[171:172], s[24:25], -v[106:107]
	s_delay_alu instid0(VALU_DEP_3) | instskip(SKIP_1) | instid1(VALU_DEP_3)
	v_add_f64_e32 v[52:53], v[52:53], v[108:109]
	v_mul_f64_e32 v[108:109], s[20:21], v[57:58]
	v_add_f64_e32 v[106:107], v[106:107], v[156:157]
	s_delay_alu instid0(VALU_DEP_2) | instskip(SKIP_1) | instid1(VALU_DEP_2)
	v_fma_f64 v[110:111], v[175:176], s[10:11], -v[108:109]
	v_fma_f64 v[108:109], v[175:176], s[10:11], v[108:109]
	v_add_f64_e32 v[50:51], v[110:111], v[50:51]
	v_mul_f64_e32 v[110:111], s[20:21], v[179:180]
	s_delay_alu instid0(VALU_DEP_3) | instskip(NEXT) | instid1(VALU_DEP_2)
	v_add_f64_e32 v[104:105], v[108:109], v[104:105]
	v_fma_f64 v[239:240], v[181:182], s[10:11], v[110:111]
	v_fma_f64 v[108:109], v[181:182], s[10:11], -v[110:111]
	s_delay_alu instid0(VALU_DEP_2) | instskip(SKIP_1) | instid1(VALU_DEP_3)
	v_add_f64_e32 v[52:53], v[239:240], v[52:53]
	v_mul_f64_e32 v[239:240], s[26:27], v[185:186]
	v_add_f64_e32 v[106:107], v[108:109], v[106:107]
	s_delay_alu instid0(VALU_DEP_2) | instskip(SKIP_1) | instid1(VALU_DEP_2)
	v_fma_f64 v[241:242], v[187:188], s[14:15], -v[239:240]
	v_fma_f64 v[108:109], v[187:188], s[14:15], v[239:240]
	v_add_f64_e32 v[50:51], v[241:242], v[50:51]
	v_mul_f64_e32 v[241:242], s[26:27], v[191:192]
	s_delay_alu instid0(VALU_DEP_3) | instskip(NEXT) | instid1(VALU_DEP_2)
	v_add_f64_e32 v[104:105], v[108:109], v[104:105]
	v_fma_f64 v[243:244], v[193:194], s[14:15], v[241:242]
	v_fma_f64 v[108:109], v[193:194], s[14:15], -v[241:242]
	s_delay_alu instid0(VALU_DEP_2) | instskip(SKIP_1) | instid1(VALU_DEP_3)
	v_add_f64_e32 v[52:53], v[243:244], v[52:53]
	v_mul_f64_e32 v[243:244], s[22:23], v[197:198]
	v_add_f64_e32 v[106:107], v[108:109], v[106:107]
	s_delay_alu instid0(VALU_DEP_2) | instskip(SKIP_1) | instid1(VALU_DEP_2)
	v_fma_f64 v[245:246], v[199:200], s[16:17], -v[243:244]
	v_fma_f64 v[108:109], v[199:200], s[16:17], v[243:244]
	v_add_f64_e32 v[50:51], v[245:246], v[50:51]
	v_mul_f64_e32 v[245:246], s[22:23], v[203:204]
	s_delay_alu instid0(VALU_DEP_3)
	v_add_f64_e32 v[104:105], v[108:109], v[104:105]
	v_fma_f64 v[108:109], v[167:168], s[16:17], v[112:113]
	v_fma_f64 v[112:113], v[175:176], s[24:25], v[146:147]
	v_fma_f64 v[146:147], v[205:206], s[24:25], -v[207:208]
	v_fma_f64 v[110:111], v[205:206], s[16:17], -v[245:246]
	v_fma_f64 v[247:248], v[205:206], s[16:17], v[245:246]
	v_add_f64_e32 v[108:109], v[108:109], v[148:149]
	v_mul_f64_e32 v[148:149], s[22:23], v[179:180]
	s_delay_alu instid0(VALU_DEP_4) | instskip(SKIP_1) | instid1(VALU_DEP_4)
	v_add_f64_e32 v[106:107], v[110:111], v[106:107]
	v_fma_f64 v[110:111], v[171:172], s[16:17], -v[114:115]
	v_add_f64_e32 v[108:109], v[112:113], v[108:109]
	v_fma_f64 v[112:113], v[181:182], s[24:25], -v[229:230]
	v_fma_f64 v[114:115], v[205:206], s[14:15], -v[237:238]
	v_add_f64_e32 v[52:53], v[247:248], v[52:53]
	v_add_f64_e32 v[110:111], v[110:111], v[132:133]
	v_fma_f64 v[132:133], v[175:176], s[14:15], v[217:218]
	s_delay_alu instid0(VALU_DEP_2) | instskip(SKIP_1) | instid1(VALU_DEP_1)
	v_add_f64_e32 v[110:111], v[112:113], v[110:111]
	v_fma_f64 v[112:113], v[187:188], s[0:1], v[231:232]
	v_add_f64_e32 v[108:109], v[112:113], v[108:109]
	v_fma_f64 v[112:113], v[193:194], s[0:1], -v[233:234]
	s_delay_alu instid0(VALU_DEP_1) | instskip(SKIP_1) | instid1(VALU_DEP_2)
	v_add_f64_e32 v[110:111], v[112:113], v[110:111]
	v_fma_f64 v[112:113], v[199:200], s[14:15], v[235:236]
	v_add_f64_e32 v[114:115], v[114:115], v[110:111]
	s_delay_alu instid0(VALU_DEP_2) | instskip(SKIP_2) | instid1(VALU_DEP_2)
	v_add_f64_e32 v[112:113], v[112:113], v[108:109]
	v_fma_f64 v[108:109], v[167:168], s[0:1], v[209:210]
	v_fma_f64 v[110:111], v[171:172], s[0:1], -v[211:212]
	v_add_f64_e32 v[108:109], v[108:109], v[144:145]
	s_delay_alu instid0(VALU_DEP_2) | instskip(SKIP_2) | instid1(VALU_DEP_4)
	v_add_f64_e32 v[110:111], v[110:111], v[158:159]
	v_fma_f64 v[144:145], v[205:206], s[10:11], -v[227:228]
	v_mul_f64_e32 v[158:159], s[18:19], v[203:204]
	v_add_f64_e32 v[108:109], v[132:133], v[108:109]
	v_fma_f64 v[132:133], v[181:182], s[14:15], -v[219:220]
	s_delay_alu instid0(VALU_DEP_1) | instskip(SKIP_1) | instid1(VALU_DEP_1)
	v_add_f64_e32 v[110:111], v[132:133], v[110:111]
	v_fma_f64 v[132:133], v[187:188], s[24:25], v[221:222]
	v_add_f64_e32 v[108:109], v[132:133], v[108:109]
	v_fma_f64 v[132:133], v[193:194], s[24:25], -v[223:224]
	s_delay_alu instid0(VALU_DEP_1) | instskip(SKIP_1) | instid1(VALU_DEP_2)
	v_add_f64_e32 v[110:111], v[132:133], v[110:111]
	v_fma_f64 v[132:133], v[199:200], s[10:11], v[225:226]
	v_add_f64_e32 v[110:111], v[144:145], v[110:111]
	s_delay_alu instid0(VALU_DEP_2) | instskip(SKIP_2) | instid1(VALU_DEP_2)
	v_add_f64_e32 v[108:109], v[132:133], v[108:109]
	v_fma_f64 v[132:133], v[167:168], s[10:11], v[169:170]
	v_fma_f64 v[144:145], v[175:176], s[0:1], v[177:178]
	v_add_f64_e32 v[132:133], v[132:133], v[134:135]
	v_fma_f64 v[134:135], v[171:172], s[10:11], -v[173:174]
	s_delay_alu instid0(VALU_DEP_2) | instskip(NEXT) | instid1(VALU_DEP_2)
	v_add_f64_e32 v[132:133], v[144:145], v[132:133]
	v_add_f64_e32 v[134:135], v[134:135], v[163:164]
	v_fma_f64 v[144:145], v[181:182], s[0:1], -v[183:184]
	s_delay_alu instid0(VALU_DEP_1) | instskip(SKIP_1) | instid1(VALU_DEP_1)
	v_add_f64_e32 v[134:135], v[144:145], v[134:135]
	v_fma_f64 v[144:145], v[187:188], s[16:17], v[189:190]
	v_add_f64_e32 v[132:133], v[144:145], v[132:133]
	v_fma_f64 v[144:145], v[193:194], s[16:17], -v[195:196]
	s_delay_alu instid0(VALU_DEP_1) | instskip(SKIP_1) | instid1(VALU_DEP_2)
	v_add_f64_e32 v[134:135], v[144:145], v[134:135]
	v_fma_f64 v[144:145], v[199:200], s[24:25], v[201:202]
	v_add_f64_e32 v[134:135], v[146:147], v[134:135]
	v_mul_f64_e32 v[146:147], s[22:23], v[57:58]
	v_add_f64_e32 v[58:59], v[59:60], v[67:68]
	v_add_f64_e32 v[60:61], v[61:62], v[69:70]
	v_add_f64_e32 v[132:133], v[144:145], v[132:133]
	v_fma_f64 v[144:145], v[167:168], s[14:15], -v[213:214]
	v_fma_f64 v[68:69], v[181:182], s[16:17], -v[148:149]
	v_add_f64_e32 v[58:59], v[58:59], v[116:117]
	v_add_f64_e32 v[60:61], v[60:61], v[118:119]
	s_delay_alu instid0(VALU_DEP_4) | instskip(SKIP_4) | instid1(VALU_DEP_4)
	v_add_f64_e32 v[54:55], v[144:145], v[55:56]
	v_fma_f64 v[144:145], v[171:172], s[14:15], v[215:216]
	v_fma_f64 v[56:57], v[175:176], s[16:17], -v[146:147]
	v_add_f64_e32 v[58:59], v[58:59], v[124:125]
	v_add_f64_e32 v[60:61], v[60:61], v[126:127]
	;; [unrolled: 1-line block ×3, first 2 shown]
	s_delay_alu instid0(VALU_DEP_4) | instskip(SKIP_3) | instid1(VALU_DEP_3)
	v_add_f64_e32 v[54:55], v[56:57], v[54:55]
	v_fma_f64 v[56:57], v[181:182], s[16:17], v[148:149]
	v_add_f64_e32 v[58:59], v[58:59], v[136:137]
	v_add_f64_e32 v[60:61], v[60:61], v[138:139]
	;; [unrolled: 1-line block ×3, first 2 shown]
	v_mul_f64_e32 v[144:145], s[20:21], v[185:186]
	s_delay_alu instid0(VALU_DEP_4) | instskip(NEXT) | instid1(VALU_DEP_4)
	v_add_f64_e32 v[58:59], v[58:59], v[140:141]
	v_add_f64_e32 v[60:61], v[60:61], v[142:143]
	s_delay_alu instid0(VALU_DEP_3) | instskip(NEXT) | instid1(VALU_DEP_3)
	v_fma_f64 v[150:151], v[187:188], s[10:11], -v[144:145]
	v_add_f64_e32 v[58:59], v[58:59], v[128:129]
	s_delay_alu instid0(VALU_DEP_3) | instskip(NEXT) | instid1(VALU_DEP_3)
	v_add_f64_e32 v[60:61], v[60:61], v[130:131]
	v_add_f64_e32 v[54:55], v[150:151], v[54:55]
	v_mul_f64_e32 v[150:151], s[20:21], v[191:192]
	s_delay_alu instid0(VALU_DEP_4) | instskip(NEXT) | instid1(VALU_DEP_4)
	v_add_f64_e32 v[58:59], v[58:59], v[122:123]
	v_add_f64_e32 v[60:61], v[60:61], v[120:121]
	s_delay_alu instid0(VALU_DEP_3) | instskip(NEXT) | instid1(VALU_DEP_3)
	v_fma_f64 v[156:157], v[193:194], s[10:11], v[150:151]
	v_add_f64_e32 v[58:59], v[58:59], v[73:74]
	s_delay_alu instid0(VALU_DEP_3)
	v_add_f64_e32 v[60:61], v[60:61], v[71:72]
	v_fma_f64 v[70:71], v[187:188], s[10:11], v[144:145]
	v_fma_f64 v[72:73], v[193:194], s[10:11], -v[150:151]
	v_add_f64_e32 v[56:57], v[156:157], v[56:57]
	v_mul_f64_e32 v[156:157], s[18:19], v[197:198]
	v_add_f64_e32 v[58:59], v[58:59], v[65:66]
	v_add_f64_e32 v[60:61], v[60:61], v[63:64]
	v_fma_f64 v[62:63], v[167:168], s[14:15], v[213:214]
	v_fma_f64 v[64:65], v[171:172], s[14:15], -v[215:216]
	v_fma_f64 v[66:67], v[175:176], s[16:17], v[146:147]
	v_fma_f64 v[163:164], v[199:200], s[0:1], -v[156:157]
	s_delay_alu instid0(VALU_DEP_4) | instskip(NEXT) | instid1(VALU_DEP_4)
	v_add_f64_e32 v[62:63], v[62:63], v[154:155]
	v_add_f64_e32 v[64:65], v[64:65], v[152:153]
	s_delay_alu instid0(VALU_DEP_3) | instskip(SKIP_1) | instid1(VALU_DEP_4)
	v_add_f64_e32 v[54:55], v[163:164], v[54:55]
	v_fma_f64 v[163:164], v[205:206], s[0:1], v[158:159]
	v_add_f64_e32 v[62:63], v[66:67], v[62:63]
	s_delay_alu instid0(VALU_DEP_4)
	v_add_f64_e32 v[64:65], v[68:69], v[64:65]
	v_fma_f64 v[66:67], v[199:200], s[0:1], v[156:157]
	v_fma_f64 v[68:69], v[205:206], s[0:1], -v[158:159]
	v_cmp_gt_u16_e64 s0, 0x55, v21
	v_add_f64_e32 v[56:57], v[163:164], v[56:57]
	ds_store_b128 v250, v[36:39] offset:544
	ds_store_b128 v250, v[40:43] offset:816
	;; [unrolled: 1-line block ×5, first 2 shown]
	ds_store_b128 v250, v[58:61]
	v_add_f64_e32 v[62:63], v[70:71], v[62:63]
	v_add_f64_e32 v[64:65], v[72:73], v[64:65]
	s_delay_alu instid0(VALU_DEP_2) | instskip(NEXT) | instid1(VALU_DEP_2)
	v_add_f64_e32 v[116:117], v[66:67], v[62:63]
	v_add_f64_e32 v[118:119], v[68:69], v[64:65]
	ds_store_b128 v250, v[104:107] offset:1632
	ds_store_b128 v250, v[112:115] offset:1904
	ds_store_b128 v250, v[108:111] offset:2176
	ds_store_b128 v250, v[132:135] offset:2448
	ds_store_b128 v250, v[116:119] offset:2720
	global_wb scope:SCOPE_SE
	s_wait_dscnt 0x0
	s_barrier_signal -1
	s_barrier_wait -1
	global_inv scope:SCOPE_SE
	ds_load_b128 v[120:123], v160
	ds_load_b128 v[136:139], v160 offset:2992
	ds_load_b128 v[124:127], v160 offset:5984
	;; [unrolled: 1-line block ×5, first 2 shown]
	s_and_saveexec_b32 s1, s0
	s_cbranch_execz .LBB0_9
; %bb.8:
	ds_load_b128 v[104:107], v160 offset:1632
	ds_load_b128 v[112:115], v160 offset:4624
	;; [unrolled: 1-line block ×6, first 2 shown]
.LBB0_9:
	s_wait_alu 0xfffe
	s_or_b32 exec_lo, exec_lo, s1
	scratch_load_b32 v22, off, off          ; 4-byte Folded Reload
	s_mov_b32 s11, 0xbfebb67a
	s_wait_loadcnt 0x0
	v_add_nc_u32_e32 v20, 0x66, v22
	v_add_nc_u32_e32 v21, 0xffffffab, v22
	v_mad_co_u64_u32 v[44:45], null, 0x50, v22, s[2:3]
	s_delay_alu instid0(VALU_DEP_2)
	v_cndmask_b32_e64 v20, v21, v20, s0
	s_clause 0x1
	global_load_b128 v[31:34], v[44:45], off offset:2752
	global_load_b128 v[35:38], v[44:45], off offset:2784
	v_mul_i32_i24_e32 v21, 0x50, v20
	v_mul_hi_i32_i24_e32 v20, 0x50, v20
	s_delay_alu instid0(VALU_DEP_2) | instskip(SKIP_1) | instid1(VALU_DEP_2)
	v_add_co_u32 v46, s1, s2, v21
	s_wait_alu 0xf1ff
	v_add_co_ci_u32_e64 v47, s1, s3, v20, s1
	s_mov_b32 s2, 0xe8584caa
	s_clause 0x7
	global_load_b128 v[223:226], v[46:47], off offset:2752
	global_load_b128 v[27:30], v[46:47], off offset:2784
	;; [unrolled: 1-line block ×8, first 2 shown]
	scratch_load_b32 v20, off, off offset:12 ; 4-byte Folded Reload
	s_mov_b32 s3, 0x3febb67a
	s_wait_alu 0xfffe
	s_mov_b32 s10, s2
	s_wait_loadcnt_dscnt 0xa02
	v_mul_f64_e32 v[148:149], v[142:143], v[33:34]
	v_mul_f64_e32 v[150:151], v[140:141], v[33:34]
	s_wait_loadcnt_dscnt 0x900
	v_mul_f64_e32 v[152:153], v[144:145], v[37:38]
	v_mul_f64_e32 v[154:155], v[146:147], v[37:38]
	s_clause 0x1
	scratch_store_b128 off, v[31:34], off offset:80
	scratch_store_b128 off, v[35:38], off offset:96
	s_wait_loadcnt 0x8
	v_mul_f64_e32 v[156:157], v[134:135], v[225:226]
	v_mul_f64_e32 v[158:159], v[132:133], v[225:226]
	s_wait_loadcnt 0x7
	v_mul_f64_e32 v[161:162], v[100:101], v[29:30]
	v_mul_f64_e32 v[163:164], v[102:103], v[29:30]
	;; [unrolled: 3-line block ×3, first 2 shown]
	scratch_store_b128 off, v[27:30], off offset:176 ; 16-byte Folded Spill
	s_wait_loadcnt 0x1
	v_mul_f64_e32 v[169:170], v[118:119], v[233:234]
	v_mul_f64_e32 v[171:172], v[116:117], v[233:234]
	s_wait_loadcnt 0x0
	v_lshl_add_u32 v249, v22, 4, v20
	s_clause 0x3
	scratch_store_b128 off, v[39:42], off offset:112
	scratch_store_b128 off, v[48:51], off offset:128
	;; [unrolled: 1-line block ×4, first 2 shown]
	v_fma_f64 v[140:141], v[140:141], v[31:32], -v[148:149]
	v_fma_f64 v[142:143], v[142:143], v[31:32], v[150:151]
	v_fma_f64 v[146:147], v[146:147], v[35:36], v[152:153]
	v_fma_f64 v[144:145], v[144:145], v[35:36], -v[154:155]
	v_mul_f64_e32 v[148:149], v[114:115], v[229:230]
	v_mul_f64_e32 v[150:151], v[112:113], v[229:230]
	;; [unrolled: 1-line block ×3, first 2 shown]
	v_fma_f64 v[132:133], v[132:133], v[223:224], -v[156:157]
	v_fma_f64 v[134:135], v[134:135], v[223:224], v[158:159]
	v_fma_f64 v[102:103], v[102:103], v[27:28], v[161:162]
	v_fma_f64 v[100:101], v[100:101], v[27:28], -v[163:164]
	v_mul_f64_e32 v[154:155], v[124:125], v[54:55]
	v_mul_f64_e32 v[156:157], v[130:131], v[50:51]
	;; [unrolled: 1-line block ×3, first 2 shown]
	v_fma_f64 v[136:137], v[136:137], v[39:40], -v[165:166]
	v_fma_f64 v[138:139], v[138:139], v[39:40], v[167:168]
	v_mul_f64_e32 v[165:166], v[110:111], v[25:26]
	v_mul_f64_e32 v[167:168], v[108:109], v[25:26]
	v_fma_f64 v[116:117], v[116:117], v[231:232], -v[169:170]
	v_fma_f64 v[118:119], v[118:119], v[231:232], v[171:172]
	v_add_f64_e32 v[161:162], v[142:143], v[146:147]
	v_add_f64_e32 v[163:164], v[140:141], v[144:145]
	v_fma_f64 v[112:113], v[112:113], v[227:228], -v[148:149]
	v_fma_f64 v[114:115], v[114:115], v[227:228], v[150:151]
	v_fma_f64 v[124:125], v[124:125], v[52:53], -v[152:153]
	v_add_f64_e64 v[152:153], v[142:143], -v[146:147]
	v_add_f64_e32 v[148:149], v[134:135], v[102:103]
	v_add_f64_e32 v[150:151], v[132:133], v[100:101]
	v_fma_f64 v[126:127], v[126:127], v[52:53], v[154:155]
	v_fma_f64 v[128:129], v[128:129], v[48:49], -v[156:157]
	v_fma_f64 v[130:131], v[130:131], v[48:49], v[158:159]
	v_add_f64_e64 v[154:155], v[140:141], -v[144:145]
	v_fma_f64 v[108:109], v[108:109], v[23:24], -v[165:166]
	v_fma_f64 v[110:111], v[110:111], v[23:24], v[167:168]
	v_fma_f64 v[156:157], v[161:162], -0.5, v[138:139]
	v_fma_f64 v[158:159], v[163:164], -0.5, v[136:137]
	v_add_f64_e64 v[161:162], v[134:135], -v[102:103]
	v_add_f64_e64 v[163:164], v[132:133], -v[100:101]
	v_add_f64_e32 v[136:137], v[136:137], v[140:141]
	v_add_f64_e32 v[138:139], v[138:139], v[142:143]
	v_fma_f64 v[148:149], v[148:149], -0.5, v[114:115]
	v_fma_f64 v[150:151], v[150:151], -0.5, v[112:113]
	v_add_f64_e32 v[112:113], v[112:113], v[132:133]
	v_add_f64_e32 v[165:166], v[124:125], v[128:129]
	;; [unrolled: 1-line block ×6, first 2 shown]
	s_wait_alu 0xfffe
	v_fma_f64 v[169:170], v[154:155], s[10:11], v[156:157]
	v_fma_f64 v[171:172], v[152:153], s[10:11], v[158:159]
	;; [unrolled: 1-line block ×4, first 2 shown]
	v_add_f64_e32 v[156:157], v[108:109], v[116:117]
	v_add_f64_e32 v[158:159], v[110:111], v[118:119]
	v_add_f64_e64 v[110:111], v[110:111], -v[118:119]
	v_fma_f64 v[173:174], v[163:164], s[10:11], v[148:149]
	v_fma_f64 v[175:176], v[161:162], s[10:11], v[150:151]
	;; [unrolled: 1-line block ×4, first 2 shown]
	v_add_f64_e32 v[161:162], v[120:121], v[124:125]
	v_add_f64_e64 v[163:164], v[126:127], -v[130:131]
	v_add_f64_e32 v[126:127], v[122:123], v[126:127]
	v_fma_f64 v[120:121], v[165:166], -0.5, v[120:121]
	v_add_f64_e64 v[124:125], v[124:125], -v[128:129]
	v_fma_f64 v[122:123], v[167:168], -0.5, v[122:123]
	v_add_f64_e64 v[108:109], v[108:109], -v[116:117]
	v_add_f64_e32 v[116:117], v[140:141], v[116:117]
	v_add_f64_e32 v[118:119], v[142:143], v[118:119]
	;; [unrolled: 1-line block ×4, first 2 shown]
	v_mul_f64_e32 v[132:133], s[2:3], v[169:170]
	v_mul_f64_e32 v[134:135], -0.5, v[171:172]
	v_mul_f64_e32 v[165:166], s[10:11], v[152:153]
	v_mul_f64_e32 v[167:168], -0.5, v[154:155]
	v_fma_f64 v[104:105], v[156:157], -0.5, v[104:105]
	v_fma_f64 v[106:107], v[158:159], -0.5, v[106:107]
	v_mul_f64_e32 v[156:157], s[2:3], v[173:174]
	v_mul_f64_e32 v[158:159], -0.5, v[175:176]
	v_mul_f64_e32 v[177:178], s[10:11], v[150:151]
	v_mul_f64_e32 v[179:180], -0.5, v[148:149]
	v_add_f64_e32 v[128:129], v[161:162], v[128:129]
	v_add_f64_e32 v[126:127], v[126:127], v[130:131]
	;; [unrolled: 1-line block ×4, first 2 shown]
	v_fma_f64 v[112:113], v[163:164], s[2:3], v[120:121]
	v_fma_f64 v[114:115], v[163:164], s[10:11], v[120:121]
	;; [unrolled: 1-line block ×4, first 2 shown]
	v_fma_f64 v[124:125], v[152:153], 0.5, v[132:133]
	v_fma_f64 v[132:133], v[154:155], s[2:3], v[134:135]
	v_fma_f64 v[134:135], v[169:170], 0.5, v[165:166]
	v_fma_f64 v[152:153], v[171:172], s[10:11], v[167:168]
	v_fma_f64 v[154:155], v[110:111], s[2:3], v[104:105]
	;; [unrolled: 1-line block ×5, first 2 shown]
	v_fma_f64 v[108:109], v[150:151], 0.5, v[156:157]
	v_fma_f64 v[156:157], v[148:149], s[2:3], v[158:159]
	v_fma_f64 v[158:159], v[173:174], 0.5, v[177:178]
	v_fma_f64 v[165:166], v[175:176], s[10:11], v[179:180]
	v_add_f64_e32 v[104:105], v[128:129], v[130:131]
	v_add_f64_e32 v[106:107], v[126:127], v[136:137]
	v_add_f64_e64 v[140:141], v[128:129], -v[130:131]
	v_add_f64_e64 v[142:143], v[126:127], -v[136:137]
	v_add_f64_e32 v[128:129], v[116:117], v[100:101]
	v_add_f64_e32 v[130:131], v[118:119], v[102:103]
	v_add_f64_e64 v[116:117], v[116:117], -v[100:101]
	v_add_f64_e64 v[118:119], v[118:119], -v[102:103]
	v_add_f64_e32 v[148:149], v[112:113], v[124:125]
	v_add_f64_e32 v[144:145], v[114:115], v[132:133]
	;; [unrolled: 1-line block ×4, first 2 shown]
	v_add_f64_e64 v[136:137], v[112:113], -v[124:125]
	v_add_f64_e64 v[132:133], v[114:115], -v[132:133]
	;; [unrolled: 1-line block ×4, first 2 shown]
	v_add_f64_e32 v[124:125], v[154:155], v[108:109]
	v_add_f64_e32 v[120:121], v[110:111], v[156:157]
	;; [unrolled: 1-line block ×4, first 2 shown]
	v_add_f64_e64 v[112:113], v[154:155], -v[108:109]
	v_add_f64_e64 v[108:109], v[110:111], -v[156:157]
	;; [unrolled: 1-line block ×4, first 2 shown]
	ds_store_b128 v249, v[104:107]
	ds_store_b128 v249, v[148:151] offset:2992
	ds_store_b128 v249, v[144:147] offset:5984
	;; [unrolled: 1-line block ×5, first 2 shown]
	s_and_saveexec_b32 s1, s0
	s_cbranch_execz .LBB0_11
; %bb.10:
	ds_store_b128 v249, v[128:131] offset:1632
	ds_store_b128 v249, v[124:127] offset:4624
	;; [unrolled: 1-line block ×6, first 2 shown]
.LBB0_11:
	s_wait_alu 0xfffe
	s_or_b32 exec_lo, exec_lo, s1
	global_wb scope:SCOPE_SE
	s_wait_storecnt_dscnt 0x0
	s_barrier_signal -1
	s_barrier_wait -1
	global_inv scope:SCOPE_SE
	s_and_saveexec_b32 s1, vcc_lo
	s_cbranch_execz .LBB0_13
; %bb.12:
	global_load_b128 v[100:103], v255, s[8:9] offset:17952
	s_add_nc_u64 s[2:3], s[8:9], 0x4620
	s_clause 0x3
	global_load_b128 v[152:155], v255, s[2:3] offset:1056
	global_load_b128 v[156:159], v255, s[2:3] offset:2112
	;; [unrolled: 1-line block ×4, first 2 shown]
	ds_load_b128 v[169:172], v249
	ds_load_b128 v[173:176], v249 offset:1056
	ds_load_b128 v[177:180], v249 offset:2112
	s_wait_loadcnt_dscnt 0x301
	v_mul_f64_e32 v[185:186], v[175:176], v[154:155]
	v_mul_f64_e32 v[181:182], v[171:172], v[102:103]
	;; [unrolled: 1-line block ×4, first 2 shown]
	s_delay_alu instid0(VALU_DEP_4) | instskip(NEXT) | instid1(VALU_DEP_4)
	v_fma_f64 v[173:174], v[173:174], v[152:153], -v[185:186]
	v_fma_f64 v[169:170], v[169:170], v[100:101], -v[181:182]
	s_delay_alu instid0(VALU_DEP_4)
	v_fma_f64 v[171:172], v[171:172], v[100:101], v[102:103]
	ds_load_b128 v[100:103], v249 offset:3168
	global_load_b128 v[181:184], v255, s[2:3] offset:5280
	v_fma_f64 v[175:176], v[175:176], v[152:153], v[154:155]
	s_wait_loadcnt_dscnt 0x301
	v_mul_f64_e32 v[152:153], v[179:180], v[158:159]
	v_mul_f64_e32 v[154:155], v[177:178], v[158:159]
	s_wait_loadcnt_dscnt 0x200
	v_mul_f64_e32 v[185:186], v[102:103], v[163:164]
	v_mul_f64_e32 v[163:164], v[100:101], v[163:164]
	s_delay_alu instid0(VALU_DEP_4) | instskip(NEXT) | instid1(VALU_DEP_4)
	v_fma_f64 v[152:153], v[177:178], v[156:157], -v[152:153]
	v_fma_f64 v[154:155], v[179:180], v[156:157], v[154:155]
	ds_load_b128 v[156:159], v249 offset:4224
	ds_load_b128 v[177:180], v249 offset:5280
	v_fma_f64 v[100:101], v[100:101], v[161:162], -v[185:186]
	v_fma_f64 v[102:103], v[102:103], v[161:162], v[163:164]
	global_load_b128 v[161:164], v255, s[2:3] offset:6336
	s_wait_loadcnt_dscnt 0x201
	v_mul_f64_e32 v[185:186], v[158:159], v[167:168]
	v_mul_f64_e32 v[167:168], v[156:157], v[167:168]
	s_delay_alu instid0(VALU_DEP_2) | instskip(NEXT) | instid1(VALU_DEP_2)
	v_fma_f64 v[156:157], v[156:157], v[165:166], -v[185:186]
	v_fma_f64 v[158:159], v[158:159], v[165:166], v[167:168]
	global_load_b128 v[165:168], v255, s[2:3] offset:7392
	s_wait_loadcnt_dscnt 0x200
	v_mul_f64_e32 v[185:186], v[179:180], v[183:184]
	v_mul_f64_e32 v[183:184], v[177:178], v[183:184]
	s_delay_alu instid0(VALU_DEP_2) | instskip(NEXT) | instid1(VALU_DEP_2)
	v_fma_f64 v[177:178], v[177:178], v[181:182], -v[185:186]
	v_fma_f64 v[179:180], v[179:180], v[181:182], v[183:184]
	ds_load_b128 v[181:184], v249 offset:6336
	ds_load_b128 v[185:188], v249 offset:7392
	s_wait_loadcnt_dscnt 0x101
	v_mul_f64_e32 v[189:190], v[183:184], v[163:164]
	v_mul_f64_e32 v[163:164], v[181:182], v[163:164]
	s_delay_alu instid0(VALU_DEP_2) | instskip(NEXT) | instid1(VALU_DEP_2)
	v_fma_f64 v[181:182], v[181:182], v[161:162], -v[189:190]
	v_fma_f64 v[183:184], v[183:184], v[161:162], v[163:164]
	s_wait_loadcnt_dscnt 0x0
	v_mul_f64_e32 v[161:162], v[187:188], v[167:168]
	v_mul_f64_e32 v[163:164], v[185:186], v[167:168]
	s_delay_alu instid0(VALU_DEP_2) | instskip(NEXT) | instid1(VALU_DEP_2)
	v_fma_f64 v[161:162], v[185:186], v[165:166], -v[161:162]
	v_fma_f64 v[163:164], v[187:188], v[165:166], v[163:164]
	s_clause 0x1
	global_load_b128 v[165:168], v255, s[2:3] offset:8448
	global_load_b128 v[185:188], v255, s[2:3] offset:9504
	ds_load_b128 v[189:192], v249 offset:8448
	ds_load_b128 v[193:196], v249 offset:9504
	s_wait_loadcnt_dscnt 0x101
	v_mul_f64_e32 v[197:198], v[191:192], v[167:168]
	v_mul_f64_e32 v[167:168], v[189:190], v[167:168]
	s_delay_alu instid0(VALU_DEP_2) | instskip(NEXT) | instid1(VALU_DEP_2)
	v_fma_f64 v[189:190], v[189:190], v[165:166], -v[197:198]
	v_fma_f64 v[191:192], v[191:192], v[165:166], v[167:168]
	s_wait_loadcnt_dscnt 0x0
	v_mul_f64_e32 v[165:166], v[195:196], v[187:188]
	v_mul_f64_e32 v[167:168], v[193:194], v[187:188]
	s_delay_alu instid0(VALU_DEP_2) | instskip(NEXT) | instid1(VALU_DEP_2)
	v_fma_f64 v[165:166], v[193:194], v[185:186], -v[165:166]
	v_fma_f64 v[167:168], v[195:196], v[185:186], v[167:168]
	s_clause 0x1
	global_load_b128 v[185:188], v255, s[2:3] offset:10560
	global_load_b128 v[193:196], v255, s[2:3] offset:11616
	;; [unrolled: 17-line block ×4, first 2 shown]
	ds_load_b128 v[213:216], v249 offset:14784
	ds_load_b128 v[217:220], v249 offset:15840
	s_wait_loadcnt_dscnt 0x101
	v_mul_f64_e32 v[221:222], v[215:216], v[203:204]
	v_mul_f64_e32 v[203:204], v[213:214], v[203:204]
	s_delay_alu instid0(VALU_DEP_2) | instskip(NEXT) | instid1(VALU_DEP_2)
	v_fma_f64 v[213:214], v[213:214], v[201:202], -v[221:222]
	v_fma_f64 v[215:216], v[215:216], v[201:202], v[203:204]
	s_wait_loadcnt_dscnt 0x0
	v_mul_f64_e32 v[201:202], v[219:220], v[211:212]
	v_mul_f64_e32 v[203:204], v[217:218], v[211:212]
	s_delay_alu instid0(VALU_DEP_2) | instskip(NEXT) | instid1(VALU_DEP_2)
	v_fma_f64 v[201:202], v[217:218], v[209:210], -v[201:202]
	v_fma_f64 v[203:204], v[219:220], v[209:210], v[203:204]
	global_load_b128 v[209:212], v255, s[2:3] offset:16896
	ds_load_b128 v[217:220], v249 offset:16896
	s_wait_loadcnt_dscnt 0x0
	v_mul_f64_e32 v[221:222], v[219:220], v[211:212]
	v_mul_f64_e32 v[211:212], v[217:218], v[211:212]
	s_delay_alu instid0(VALU_DEP_2) | instskip(NEXT) | instid1(VALU_DEP_2)
	v_fma_f64 v[217:218], v[217:218], v[209:210], -v[221:222]
	v_fma_f64 v[219:220], v[219:220], v[209:210], v[211:212]
	ds_store_b128 v249, v[169:172]
	ds_store_b128 v249, v[173:176] offset:1056
	ds_store_b128 v249, v[152:155] offset:2112
	;; [unrolled: 1-line block ×16, first 2 shown]
.LBB0_13:
	s_wait_alu 0xfffe
	s_or_b32 exec_lo, exec_lo, s1
	global_wb scope:SCOPE_SE
	s_wait_dscnt 0x0
	s_barrier_signal -1
	s_barrier_wait -1
	global_inv scope:SCOPE_SE
	s_and_saveexec_b32 s1, vcc_lo
	s_cbranch_execz .LBB0_15
; %bb.14:
	ds_load_b128 v[104:107], v249
	ds_load_b128 v[148:151], v249 offset:1056
	ds_load_b128 v[144:147], v249 offset:2112
	;; [unrolled: 1-line block ×16, first 2 shown]
.LBB0_15:
	s_wait_alu 0xfffe
	s_or_b32 exec_lo, exec_lo, s1
	s_wait_dscnt 0x0
	v_add_f64_e64 v[239:240], v[150:151], -v[2:3]
	s_mov_b32 s14, 0x6c9a05f6
	s_mov_b32 s15, 0xbfe9895b
	v_add_f64_e32 v[237:238], v[148:149], v[0:1]
	v_add_f64_e64 v[56:57], v[146:147], -v[6:7]
	s_mov_b32 s2, 0x6ed5f1bb
	s_mov_b32 s22, 0x923c349f
	;; [unrolled: 1-line block ×4, first 2 shown]
	v_add_f64_e32 v[152:153], v[144:145], v[4:5]
	v_add_f64_e32 v[243:244], v[150:151], v[2:3]
	s_mov_b32 s10, 0xc61f0d01
	s_mov_b32 s11, 0xbfd183b1
	v_add_f64_e64 v[34:35], v[148:149], -v[0:1]
	v_add_f64_e32 v[245:246], v[146:147], v[6:7]
	v_add_f64_e64 v[60:61], v[144:145], -v[4:5]
	v_add_f64_e64 v[58:59], v[142:143], -v[10:11]
	s_mov_b32 s28, 0x5d8e7cdc
	s_mov_b32 s29, 0xbfd71e95
	s_mov_b32 s16, 0x370991
	s_mov_b32 s17, 0x3fedd6d0
	v_add_f64_e64 v[64:65], v[140:141], -v[8:9]
	v_add_f64_e64 v[62:63], v[138:139], -v[14:15]
	s_mov_b32 s36, 0x4363dd80
	s_mov_b32 s37, 0xbfe0d888
	s_mov_b32 s18, 0x910ea3b9
	s_mov_b32 s19, 0xbfeb34fa
	;; [unrolled: 6-line block ×3, first 2 shown]
	v_add_f64_e64 v[72:73], v[132:133], -v[16:17]
	v_add_f64_e64 v[28:29], v[130:131], -v[110:111]
	s_mov_b32 s40, 0x2a9d6da3
	s_mov_b32 s41, 0xbfe58eea
	s_mov_b32 s24, 0x75d4884
	s_wait_alu 0xfffe
	v_mul_f64_e32 v[241:242], s[14:15], v[239:240]
	s_mov_b32 s25, 0x3fe7a5f6
	v_add_f64_e64 v[22:23], v[128:129], -v[108:109]
	v_add_f64_e64 v[32:33], v[126:127], -v[114:115]
	v_mul_f64_e32 v[20:21], s[22:23], v[56:57]
	s_mov_b32 s26, 0x7faef3
	s_mov_b32 s27, 0xbfef7484
	v_add_f64_e64 v[26:27], v[124:125], -v[112:113]
	v_add_f64_e64 v[30:31], v[122:123], -v[118:119]
	s_mov_b32 s42, 0x7c9e640b
	v_mul_f64_e32 v[171:172], s[2:3], v[243:244]
	s_mov_b32 s43, 0x3feca52d
	s_mov_b32 s30, 0x2b2883cd
	;; [unrolled: 1-line block ×3, first 2 shown]
	v_mul_f64_e32 v[66:67], s[10:11], v[245:246]
	v_add_f64_e64 v[36:37], v[120:121], -v[116:117]
	v_mul_f64_e32 v[70:71], s[28:29], v[58:59]
	global_wb scope:SCOPE_SE
	s_barrier_signal -1
	s_barrier_wait -1
	global_inv scope:SCOPE_SE
	v_mul_f64_e32 v[154:155], s[36:37], v[62:63]
	v_mul_f64_e32 v[185:186], s[34:35], v[24:25]
	;; [unrolled: 1-line block ×3, first 2 shown]
	v_fma_f64 v[100:101], v[237:238], s[2:3], -v[241:242]
	v_mul_f64_e32 v[191:192], s[38:39], v[32:33]
	v_fma_f64 v[102:103], v[152:153], s[10:11], -v[20:21]
	s_wait_alu 0xfffe
	v_mul_f64_e32 v[201:202], s[42:43], v[30:31]
	v_fma_f64 v[156:157], v[60:61], s[22:23], v[66:67]
	v_add_f64_e32 v[100:101], v[104:105], v[100:101]
	s_delay_alu instid0(VALU_DEP_1) | instskip(SKIP_1) | instid1(VALU_DEP_1)
	v_add_f64_e32 v[100:101], v[102:103], v[100:101]
	v_fma_f64 v[102:103], v[34:35], s[14:15], v[171:172]
	v_add_f64_e32 v[102:103], v[106:107], v[102:103]
	s_delay_alu instid0(VALU_DEP_1) | instskip(SKIP_1) | instid1(VALU_DEP_1)
	v_add_f64_e32 v[102:103], v[156:157], v[102:103]
	v_add_f64_e32 v[156:157], v[140:141], v[8:9]
	v_fma_f64 v[158:159], v[156:157], s[16:17], -v[70:71]
	s_delay_alu instid0(VALU_DEP_1) | instskip(SKIP_1) | instid1(VALU_DEP_1)
	v_add_f64_e32 v[100:101], v[158:159], v[100:101]
	v_add_f64_e32 v[158:159], v[142:143], v[10:11]
	v_mul_f64_e32 v[74:75], s[16:17], v[158:159]
	s_delay_alu instid0(VALU_DEP_1) | instskip(NEXT) | instid1(VALU_DEP_1)
	v_fma_f64 v[161:162], v[64:65], s[28:29], v[74:75]
	v_add_f64_e32 v[102:103], v[161:162], v[102:103]
	v_add_f64_e32 v[161:162], v[136:137], v[12:13]
	s_delay_alu instid0(VALU_DEP_1) | instskip(NEXT) | instid1(VALU_DEP_1)
	v_fma_f64 v[163:164], v[161:162], s[18:19], -v[154:155]
	v_add_f64_e32 v[100:101], v[163:164], v[100:101]
	v_add_f64_e32 v[163:164], v[138:139], v[14:15]
	s_delay_alu instid0(VALU_DEP_1) | instskip(NEXT) | instid1(VALU_DEP_1)
	v_mul_f64_e32 v[183:184], s[18:19], v[163:164]
	v_fma_f64 v[165:166], v[68:69], s[36:37], v[183:184]
	s_delay_alu instid0(VALU_DEP_1) | instskip(SKIP_1) | instid1(VALU_DEP_1)
	v_add_f64_e32 v[102:103], v[165:166], v[102:103]
	v_add_f64_e32 v[165:166], v[132:133], v[16:17]
	v_fma_f64 v[167:168], v[165:166], s[20:21], -v[185:186]
	s_delay_alu instid0(VALU_DEP_1) | instskip(SKIP_1) | instid1(VALU_DEP_1)
	v_add_f64_e32 v[100:101], v[167:168], v[100:101]
	v_add_f64_e32 v[167:168], v[134:135], v[18:19]
	v_mul_f64_e32 v[189:190], s[20:21], v[167:168]
	s_delay_alu instid0(VALU_DEP_1) | instskip(NEXT) | instid1(VALU_DEP_1)
	v_fma_f64 v[169:170], v[72:73], s[34:35], v[189:190]
	v_add_f64_e32 v[102:103], v[169:170], v[102:103]
	v_add_f64_e32 v[169:170], v[128:129], v[108:109]
	s_delay_alu instid0(VALU_DEP_1) | instskip(NEXT) | instid1(VALU_DEP_1)
	v_fma_f64 v[173:174], v[169:170], s[24:25], -v[187:188]
	v_add_f64_e32 v[100:101], v[173:174], v[100:101]
	v_add_f64_e32 v[173:174], v[130:131], v[110:111]
	s_delay_alu instid0(VALU_DEP_1) | instskip(NEXT) | instid1(VALU_DEP_1)
	v_mul_f64_e32 v[193:194], s[24:25], v[173:174]
	v_fma_f64 v[175:176], v[22:23], s[40:41], v[193:194]
	;; [unrolled: 19-line block ×3, first 2 shown]
	s_delay_alu instid0(VALU_DEP_1)
	v_add_f64_e32 v[199:200], v[251:252], v[102:103]
	s_and_saveexec_b32 s1, vcc_lo
	s_cbranch_execz .LBB0_17
; %bb.16:
	v_add_f64_e32 v[150:151], v[106:107], v[150:151]
	v_add_f64_e32 v[148:149], v[104:105], v[148:149]
	s_mov_b32 s47, 0xbfefdd0d
	s_mov_b32 s46, s34
	;; [unrolled: 1-line block ×9, first 2 shown]
	v_mul_f64_e32 v[215:216], s[34:35], v[36:37]
	v_mul_f64_e32 v[217:218], s[34:35], v[30:31]
	s_mov_b32 s53, 0x3fe9895b
	s_mov_b32 s52, s14
	v_mul_f64_e32 v[251:252], s[40:41], v[56:57]
	s_wait_alu 0xfffe
	v_mul_f64_e32 v[235:236], s[46:47], v[56:57]
	v_mul_f64_e32 v[253:254], s[14:15], v[58:59]
	;; [unrolled: 1-line block ×9, first 2 shown]
	v_add_f64_e32 v[146:147], v[150:151], v[146:147]
	v_add_f64_e32 v[144:145], v[148:149], v[144:145]
	v_fma_f64 v[50:51], v[169:170], s[10:11], v[48:49]
	v_fma_f64 v[54:55], v[175:176], s[30:31], v[52:53]
	s_delay_alu instid0(VALU_DEP_4) | instskip(NEXT) | instid1(VALU_DEP_4)
	v_add_f64_e32 v[142:143], v[146:147], v[142:143]
	v_add_f64_e32 v[140:141], v[144:145], v[140:141]
	s_delay_alu instid0(VALU_DEP_2) | instskip(NEXT) | instid1(VALU_DEP_2)
	v_add_f64_e32 v[138:139], v[142:143], v[138:139]
	v_add_f64_e32 v[136:137], v[140:141], v[136:137]
	s_delay_alu instid0(VALU_DEP_2) | instskip(NEXT) | instid1(VALU_DEP_2)
	v_add_f64_e32 v[134:135], v[138:139], v[134:135]
	v_add_f64_e32 v[132:133], v[136:137], v[132:133]
	v_mul_f64_e32 v[136:137], s[44:45], v[239:240]
	s_delay_alu instid0(VALU_DEP_3) | instskip(NEXT) | instid1(VALU_DEP_3)
	v_add_f64_e32 v[130:131], v[134:135], v[130:131]
	v_add_f64_e32 v[128:129], v[132:133], v[128:129]
	v_mul_f64_e32 v[134:135], s[46:47], v[239:240]
	v_mul_f64_e32 v[132:133], s[54:55], v[239:240]
	v_fma_f64 v[150:151], v[237:238], s[30:31], v[136:137]
	v_fma_f64 v[136:137], v[237:238], s[30:31], -v[136:137]
	v_add_f64_e32 v[126:127], v[130:131], v[126:127]
	v_add_f64_e32 v[124:125], v[128:129], v[124:125]
	v_mul_f64_e32 v[128:129], s[40:41], v[239:240]
	v_mul_f64_e32 v[130:131], s[28:29], v[239:240]
	v_fma_f64 v[148:149], v[237:238], s[20:21], -v[134:135]
	v_fma_f64 v[146:147], v[237:238], s[10:11], -v[132:133]
	v_fma_f64 v[132:133], v[237:238], s[10:11], v[132:133]
	v_fma_f64 v[134:135], v[237:238], s[20:21], v[134:135]
	v_add_f64_e32 v[122:123], v[126:127], v[122:123]
	v_add_f64_e32 v[120:121], v[124:125], v[120:121]
	v_fma_f64 v[142:143], v[237:238], s[24:25], v[128:129]
	v_fma_f64 v[128:129], v[237:238], s[24:25], -v[128:129]
	v_fma_f64 v[144:145], v[237:238], s[16:17], v[130:131]
	v_fma_f64 v[130:131], v[237:238], s[16:17], -v[130:131]
	v_mul_f64_e32 v[124:125], s[38:39], v[239:240]
	v_mul_f64_e32 v[126:127], s[36:37], v[239:240]
	v_add_f64_e32 v[146:147], v[104:105], v[146:147]
	v_add_f64_e32 v[134:135], v[104:105], v[134:135]
	;; [unrolled: 1-line block ×6, first 2 shown]
	v_fma_f64 v[138:139], v[237:238], s[26:27], -v[124:125]
	v_fma_f64 v[124:125], v[237:238], s[26:27], v[124:125]
	v_fma_f64 v[140:141], v[237:238], s[18:19], -v[126:127]
	v_fma_f64 v[126:127], v[237:238], s[18:19], v[126:127]
	v_add_f64_e32 v[114:115], v[118:119], v[114:115]
	v_add_f64_e32 v[112:113], v[116:117], v[112:113]
	;; [unrolled: 1-line block ×8, first 2 shown]
	s_delay_alu instid0(VALU_DEP_2) | instskip(NEXT) | instid1(VALU_DEP_2)
	v_add_f64_e32 v[18:19], v[110:111], v[18:19]
	v_add_f64_e32 v[16:17], v[108:109], v[16:17]
	v_mul_f64_e32 v[108:109], s[44:45], v[34:35]
	s_delay_alu instid0(VALU_DEP_3) | instskip(NEXT) | instid1(VALU_DEP_3)
	v_add_f64_e32 v[14:15], v[18:19], v[14:15]
	v_add_f64_e32 v[12:13], v[16:17], v[12:13]
	v_mul_f64_e32 v[18:19], s[46:47], v[34:35]
	v_mul_f64_e32 v[16:17], s[54:55], v[34:35]
	v_fma_f64 v[122:123], v[243:244], s[30:31], -v[108:109]
	v_fma_f64 v[108:109], v[243:244], s[30:31], v[108:109]
	v_add_f64_e32 v[10:11], v[14:15], v[10:11]
	v_add_f64_e32 v[8:9], v[12:13], v[8:9]
	v_mul_f64_e32 v[12:13], s[40:41], v[34:35]
	v_mul_f64_e32 v[14:15], s[28:29], v[34:35]
	v_fma_f64 v[120:121], v[243:244], s[20:21], v[18:19]
	v_fma_f64 v[18:19], v[243:244], s[20:21], -v[18:19]
	v_fma_f64 v[118:119], v[243:244], s[10:11], v[16:17]
	v_fma_f64 v[16:17], v[243:244], s[10:11], -v[16:17]
	v_add_f64_e32 v[6:7], v[10:11], v[6:7]
	v_add_f64_e32 v[4:5], v[8:9], v[4:5]
	v_fma_f64 v[114:115], v[243:244], s[24:25], -v[12:13]
	v_fma_f64 v[12:13], v[243:244], s[24:25], v[12:13]
	v_fma_f64 v[116:117], v[243:244], s[16:17], -v[14:15]
	v_fma_f64 v[14:15], v[243:244], s[16:17], v[14:15]
	v_mul_f64_e32 v[10:11], s[36:37], v[34:35]
	v_mul_f64_e32 v[8:9], s[38:39], v[34:35]
	v_add_f64_e32 v[2:3], v[6:7], v[2:3]
	v_add_f64_e32 v[0:1], v[4:5], v[0:1]
	v_mul_f64_e32 v[4:5], s[14:15], v[34:35]
	v_mul_f64_e32 v[6:7], s[2:3], v[237:238]
	v_add_f64_e32 v[114:115], v[106:107], v[114:115]
	v_add_f64_e32 v[116:117], v[106:107], v[116:117]
	v_fma_f64 v[112:113], v[243:244], s[18:19], v[10:11]
	v_fma_f64 v[10:11], v[243:244], s[18:19], -v[10:11]
	v_fma_f64 v[110:111], v[243:244], s[26:27], v[8:9]
	v_fma_f64 v[8:9], v[243:244], s[26:27], -v[8:9]
	v_mul_f64_e32 v[243:244], s[44:45], v[64:65]
	v_fma_f64 v[34:35], v[181:182], s[24:25], -v[219:220]
	scratch_store_b128 off, v[0:3], off offset:192 ; 16-byte Folded Spill
	v_add_f64_e32 v[0:1], v[106:107], v[12:13]
	v_add_f64_e64 v[4:5], v[171:172], -v[4:5]
	v_add_f64_e32 v[6:7], v[6:7], v[241:242]
	v_add_f64_e32 v[12:13], v[106:107], v[118:119]
	;; [unrolled: 1-line block ×4, first 2 shown]
	v_mul_f64_e32 v[10:11], s[50:51], v[60:61]
	v_add_f64_e32 v[110:111], v[106:107], v[110:111]
	v_add_f64_e32 v[8:9], v[106:107], v[8:9]
	v_mul_f64_e32 v[171:172], s[14:15], v[64:65]
	scratch_store_b64 off, v[0:1], off offset:264 ; 8-byte Folded Spill
	v_add_f64_e32 v[0:1], v[104:105], v[128:129]
	v_add_f64_e32 v[239:240], v[106:107], v[4:5]
	;; [unrolled: 1-line block ×4, first 2 shown]
	v_mul_f64_e32 v[16:17], s[50:51], v[56:57]
	v_fma_f64 v[4:5], v[245:246], s[16:17], v[10:11]
	v_fma_f64 v[10:11], v[245:246], s[16:17], -v[10:11]
	scratch_store_b64 off, v[0:1], off offset:256 ; 8-byte Folded Spill
	v_add_f64_e32 v[0:1], v[106:107], v[14:15]
	v_add_f64_e32 v[14:15], v[106:107], v[120:121]
	;; [unrolled: 1-line block ×5, first 2 shown]
	v_fma_f64 v[6:7], v[152:153], s[16:17], -v[16:17]
	v_add_f64_e32 v[8:9], v[10:11], v[8:9]
	v_fma_f64 v[10:11], v[152:153], s[16:17], v[16:17]
	v_mul_f64_e32 v[150:151], s[14:15], v[28:29]
	scratch_store_b64 off, v[0:1], off offset:232 ; 8-byte Folded Spill
	v_add_f64_e32 v[0:1], v[104:105], v[130:131]
	v_add_f64_e32 v[130:131], v[104:105], v[132:133]
	;; [unrolled: 1-line block ×3, first 2 shown]
	v_mul_f64_e32 v[18:19], s[36:37], v[64:65]
	v_add_f64_e32 v[6:7], v[6:7], v[138:139]
	v_add_f64_e32 v[10:11], v[10:11], v[124:125]
	scratch_store_b64 off, v[0:1], off offset:224 ; 8-byte Folded Spill
	v_add_f64_e32 v[0:1], v[104:105], v[148:149]
	v_mul_f64_e32 v[148:149], s[36:37], v[26:27]
	v_fma_f64 v[16:17], v[158:159], s[18:19], -v[18:19]
	scratch_store_b64 off, v[0:1], off offset:304 ; 8-byte Folded Spill
	v_add_f64_e32 v[0:1], v[106:107], v[108:109]
	v_add_f64_e32 v[8:9], v[16:17], v[8:9]
	scratch_store_b64 off, v[0:1], off offset:296 ; 8-byte Folded Spill
	v_add_f64_e32 v[0:1], v[104:105], v[136:137]
	v_fma_f64 v[104:105], v[158:159], s[18:19], v[18:19]
	v_fma_f64 v[18:19], v[179:180], s[20:21], v[217:218]
	scratch_store_b64 off, v[0:1], off offset:288 ; 8-byte Folded Spill
	v_add_f64_e32 v[4:5], v[104:105], v[4:5]
	v_mul_f64_e32 v[104:105], s[36:37], v[58:59]
	s_delay_alu instid0(VALU_DEP_1) | instskip(SKIP_2) | instid1(VALU_DEP_3)
	v_fma_f64 v[106:107], v[156:157], s[18:19], -v[104:105]
	v_fma_f64 v[16:17], v[156:157], s[18:19], v[104:105]
	v_mul_f64_e32 v[104:105], s[42:43], v[60:61]
	v_add_f64_e32 v[6:7], v[106:107], v[6:7]
	v_mul_f64_e32 v[106:107], s[48:49], v[68:69]
	s_delay_alu instid0(VALU_DEP_4) | instskip(NEXT) | instid1(VALU_DEP_2)
	v_add_f64_e32 v[10:11], v[16:17], v[10:11]
	v_fma_f64 v[108:109], v[163:164], s[24:25], v[106:107]
	v_fma_f64 v[16:17], v[163:164], s[24:25], -v[106:107]
	v_mul_f64_e32 v[106:107], s[42:43], v[56:57]
	s_delay_alu instid0(VALU_DEP_3) | instskip(SKIP_1) | instid1(VALU_DEP_4)
	v_add_f64_e32 v[4:5], v[108:109], v[4:5]
	v_mul_f64_e32 v[108:109], s[48:49], v[62:63]
	v_add_f64_e32 v[8:9], v[16:17], v[8:9]
	s_delay_alu instid0(VALU_DEP_2) | instskip(SKIP_2) | instid1(VALU_DEP_3)
	v_fma_f64 v[110:111], v[161:162], s[24:25], -v[108:109]
	v_fma_f64 v[16:17], v[161:162], s[24:25], v[108:109]
	v_mul_f64_e32 v[108:109], s[46:47], v[64:65]
	v_add_f64_e32 v[6:7], v[110:111], v[6:7]
	v_mul_f64_e32 v[110:111], s[14:15], v[72:73]
	s_delay_alu instid0(VALU_DEP_4) | instskip(NEXT) | instid1(VALU_DEP_2)
	v_add_f64_e32 v[10:11], v[16:17], v[10:11]
	v_fma_f64 v[118:119], v[167:168], s[2:3], v[110:111]
	v_fma_f64 v[16:17], v[167:168], s[2:3], -v[110:111]
	v_fma_f64 v[110:111], v[158:159], s[20:21], v[108:109]
	v_fma_f64 v[108:109], v[158:159], s[20:21], -v[108:109]
	s_delay_alu instid0(VALU_DEP_4) | instskip(SKIP_2) | instid1(VALU_DEP_2)
	v_add_f64_e32 v[4:5], v[118:119], v[4:5]
	v_mul_f64_e32 v[118:119], s[14:15], v[24:25]
	v_add_f64_e32 v[8:9], v[16:17], v[8:9]
	v_fma_f64 v[136:137], v[165:166], s[2:3], -v[118:119]
	v_fma_f64 v[16:17], v[165:166], s[2:3], v[118:119]
	s_delay_alu instid0(VALU_DEP_2) | instskip(SKIP_1) | instid1(VALU_DEP_3)
	v_add_f64_e32 v[6:7], v[136:137], v[6:7]
	v_mul_f64_e32 v[136:137], s[42:43], v[22:23]
	v_add_f64_e32 v[10:11], v[16:17], v[10:11]
	s_delay_alu instid0(VALU_DEP_2) | instskip(SKIP_1) | instid1(VALU_DEP_2)
	v_fma_f64 v[138:139], v[173:174], s[30:31], v[136:137]
	v_fma_f64 v[16:17], v[173:174], s[30:31], -v[136:137]
	v_add_f64_e32 v[4:5], v[138:139], v[4:5]
	v_mul_f64_e32 v[138:139], s[42:43], v[28:29]
	s_delay_alu instid0(VALU_DEP_3) | instskip(NEXT) | instid1(VALU_DEP_2)
	v_add_f64_e32 v[8:9], v[16:17], v[8:9]
	v_fma_f64 v[195:196], v[169:170], s[30:31], -v[138:139]
	v_fma_f64 v[16:17], v[169:170], s[30:31], v[138:139]
	s_delay_alu instid0(VALU_DEP_2) | instskip(SKIP_1) | instid1(VALU_DEP_3)
	v_add_f64_e32 v[6:7], v[195:196], v[6:7]
	v_mul_f64_e32 v[195:196], s[54:55], v[26:27]
	v_add_f64_e32 v[10:11], v[16:17], v[10:11]
	s_delay_alu instid0(VALU_DEP_2) | instskip(SKIP_1) | instid1(VALU_DEP_2)
	v_fma_f64 v[209:210], v[177:178], s[10:11], v[195:196]
	v_fma_f64 v[16:17], v[177:178], s[10:11], -v[195:196]
	v_add_f64_e32 v[4:5], v[209:210], v[4:5]
	v_mul_f64_e32 v[209:210], s[54:55], v[32:33]
	s_delay_alu instid0(VALU_DEP_3) | instskip(NEXT) | instid1(VALU_DEP_2)
	v_add_f64_e32 v[8:9], v[16:17], v[8:9]
	v_fma_f64 v[211:212], v[175:176], s[10:11], -v[209:210]
	v_fma_f64 v[16:17], v[175:176], s[10:11], v[209:210]
	s_delay_alu instid0(VALU_DEP_2) | instskip(SKIP_1) | instid1(VALU_DEP_3)
	v_add_f64_e32 v[211:212], v[211:212], v[6:7]
	v_fma_f64 v[6:7], v[181:182], s[20:21], v[215:216]
	v_add_f64_e32 v[16:17], v[16:17], v[10:11]
	v_fma_f64 v[10:11], v[181:182], s[20:21], -v[215:216]
	v_mul_f64_e32 v[215:216], s[54:55], v[36:37]
	s_delay_alu instid0(VALU_DEP_4) | instskip(SKIP_2) | instid1(VALU_DEP_2)
	v_add_f64_e32 v[2:3], v[6:7], v[4:5]
	v_fma_f64 v[4:5], v[179:180], s[20:21], -v[217:218]
	v_mul_f64_e32 v[217:218], s[54:55], v[30:31]
	v_add_f64_e32 v[0:1], v[4:5], v[211:212]
	v_dual_mov_b32 v4, v197 :: v_dual_mov_b32 v5, v198
	v_dual_mov_b32 v6, v199 :: v_dual_mov_b32 v7, v200
	v_mul_f64_e32 v[197:198], s[28:29], v[22:23]
	v_mul_f64_e32 v[199:200], s[50:51], v[68:69]
	scratch_store_b128 off, v[0:3], off offset:208 ; 16-byte Folded Spill
	v_add_f64_e32 v[0:1], v[18:19], v[16:17]
	v_fma_f64 v[16:17], v[245:246], s[30:31], v[104:105]
	v_fma_f64 v[18:19], v[152:153], s[30:31], -v[106:107]
	v_fma_f64 v[104:105], v[245:246], s[30:31], -v[104:105]
	v_fma_f64 v[106:107], v[152:153], s[30:31], v[106:107]
	v_add_f64_e32 v[2:3], v[10:11], v[8:9]
	v_mul_f64_e32 v[10:11], s[38:39], v[36:37]
	v_mul_f64_e32 v[8:9], s[38:39], v[62:63]
	v_add_f64_e32 v[16:17], v[16:17], v[112:113]
	v_add_f64_e32 v[18:19], v[18:19], v[140:141]
	;; [unrolled: 1-line block ×4, first 2 shown]
	scratch_store_b128 off, v[0:3], off offset:240 ; 16-byte Folded Spill
	v_mul_f64_e32 v[237:238], s[46:47], v[62:63]
	v_fma_f64 v[38:39], v[161:162], s[26:27], v[8:9]
	v_mul_f64_e32 v[126:127], s[36:37], v[68:69]
	v_add_f64_e32 v[16:17], v[110:111], v[16:17]
	v_mul_f64_e32 v[110:111], s[46:47], v[58:59]
	v_add_f64_e32 v[104:105], v[108:109], v[104:105]
	s_delay_alu instid0(VALU_DEP_4) | instskip(SKIP_1) | instid1(VALU_DEP_4)
	v_add_f64_e64 v[126:127], v[183:184], -v[126:127]
	v_mul_f64_e32 v[183:184], s[22:23], v[62:63]
	v_fma_f64 v[112:113], v[156:157], s[20:21], -v[110:111]
	v_fma_f64 v[108:109], v[156:157], s[20:21], v[110:111]
	v_fma_f64 v[110:111], v[179:180], s[10:11], v[217:218]
	s_delay_alu instid0(VALU_DEP_3) | instskip(SKIP_1) | instid1(VALU_DEP_4)
	v_add_f64_e32 v[18:19], v[112:113], v[18:19]
	v_mul_f64_e32 v[112:113], s[52:53], v[68:69]
	v_add_f64_e32 v[106:107], v[108:109], v[106:107]
	s_delay_alu instid0(VALU_DEP_2) | instskip(SKIP_2) | instid1(VALU_DEP_3)
	v_fma_f64 v[118:119], v[163:164], s[2:3], v[112:113]
	v_fma_f64 v[108:109], v[163:164], s[2:3], -v[112:113]
	v_fma_f64 v[112:113], v[158:159], s[30:31], -v[243:244]
	v_add_f64_e32 v[16:17], v[118:119], v[16:17]
	v_mul_f64_e32 v[118:119], s[52:53], v[62:63]
	s_delay_alu instid0(VALU_DEP_4) | instskip(NEXT) | instid1(VALU_DEP_2)
	v_add_f64_e32 v[104:105], v[108:109], v[104:105]
	v_fma_f64 v[124:125], v[161:162], s[2:3], -v[118:119]
	v_fma_f64 v[108:109], v[161:162], s[2:3], v[118:119]
	v_mul_f64_e32 v[118:119], s[28:29], v[64:65]
	s_delay_alu instid0(VALU_DEP_3) | instskip(SKIP_1) | instid1(VALU_DEP_4)
	v_add_f64_e32 v[18:19], v[124:125], v[18:19]
	v_mul_f64_e32 v[124:125], s[28:29], v[72:73]
	v_add_f64_e32 v[106:107], v[108:109], v[106:107]
	s_delay_alu instid0(VALU_DEP_4) | instskip(SKIP_1) | instid1(VALU_DEP_4)
	v_add_f64_e64 v[118:119], v[74:75], -v[118:119]
	v_dual_mov_b32 v75, v31 :: v_dual_mov_b32 v74, v30
	v_fma_f64 v[136:137], v[167:168], s[16:17], v[124:125]
	v_fma_f64 v[108:109], v[167:168], s[16:17], -v[124:125]
	v_mul_f64_e32 v[124:125], s[16:17], v[156:157]
	s_delay_alu instid0(VALU_DEP_3) | instskip(SKIP_1) | instid1(VALU_DEP_4)
	v_add_f64_e32 v[16:17], v[136:137], v[16:17]
	v_mul_f64_e32 v[136:137], s[28:29], v[24:25]
	v_add_f64_e32 v[104:105], v[108:109], v[104:105]
	s_delay_alu instid0(VALU_DEP_4) | instskip(SKIP_1) | instid1(VALU_DEP_1)
	v_add_f64_e32 v[124:125], v[124:125], v[70:71]
	v_dual_mov_b32 v71, v27 :: v_dual_mov_b32 v70, v26
	v_mul_f64_e32 v[221:222], s[52:53], v[70:71]
	v_fma_f64 v[138:139], v[165:166], s[16:17], -v[136:137]
	v_fma_f64 v[108:109], v[165:166], s[16:17], v[136:137]
	v_mul_f64_e32 v[136:137], s[18:19], v[161:162]
	s_delay_alu instid0(VALU_DEP_3) | instskip(SKIP_1) | instid1(VALU_DEP_4)
	v_add_f64_e32 v[18:19], v[138:139], v[18:19]
	v_mul_f64_e32 v[138:139], s[38:39], v[22:23]
	v_add_f64_e32 v[106:107], v[108:109], v[106:107]
	s_delay_alu instid0(VALU_DEP_4) | instskip(SKIP_1) | instid1(VALU_DEP_4)
	v_add_f64_e32 v[136:137], v[136:137], v[154:155]
	v_mul_f64_e32 v[154:155], s[36:37], v[28:29]
	v_fma_f64 v[140:141], v[173:174], s[26:27], v[138:139]
	v_fma_f64 v[108:109], v[173:174], s[26:27], -v[138:139]
	v_mul_f64_e32 v[138:139], s[34:35], v[72:73]
	s_delay_alu instid0(VALU_DEP_3) | instskip(SKIP_1) | instid1(VALU_DEP_4)
	v_add_f64_e32 v[16:17], v[140:141], v[16:17]
	v_mul_f64_e32 v[140:141], s[38:39], v[28:29]
	v_add_f64_e32 v[104:105], v[108:109], v[104:105]
	s_delay_alu instid0(VALU_DEP_4) | instskip(SKIP_1) | instid1(VALU_DEP_4)
	v_add_f64_e64 v[138:139], v[189:190], -v[138:139]
	v_mul_f64_e32 v[189:190], s[22:23], v[64:65]
	v_fma_f64 v[195:196], v[169:170], s[26:27], -v[140:141]
	v_fma_f64 v[108:109], v[169:170], s[26:27], v[140:141]
	v_mul_f64_e32 v[140:141], s[20:21], v[165:166]
	s_delay_alu instid0(VALU_DEP_3) | instskip(SKIP_1) | instid1(VALU_DEP_4)
	v_add_f64_e32 v[18:19], v[195:196], v[18:19]
	v_mul_f64_e32 v[195:196], s[48:49], v[26:27]
	v_add_f64_e32 v[106:107], v[108:109], v[106:107]
	s_delay_alu instid0(VALU_DEP_4) | instskip(SKIP_1) | instid1(VALU_DEP_4)
	v_add_f64_e32 v[140:141], v[140:141], v[185:186]
	v_mul_f64_e32 v[185:186], s[46:47], v[32:33]
	v_fma_f64 v[209:210], v[177:178], s[24:25], v[195:196]
	v_fma_f64 v[108:109], v[177:178], s[24:25], -v[195:196]
	v_mul_f64_e32 v[195:196], s[14:15], v[22:23]
	s_delay_alu instid0(VALU_DEP_3) | instskip(SKIP_1) | instid1(VALU_DEP_4)
	v_add_f64_e32 v[16:17], v[209:210], v[16:17]
	v_mul_f64_e32 v[209:210], s[48:49], v[32:33]
	v_add_f64_e32 v[104:105], v[108:109], v[104:105]
	s_delay_alu instid0(VALU_DEP_2) | instskip(SKIP_2) | instid1(VALU_DEP_3)
	v_fma_f64 v[211:212], v[175:176], s[24:25], -v[209:210]
	v_fma_f64 v[108:109], v[175:176], s[24:25], v[209:210]
	v_mul_f64_e32 v[209:210], s[54:55], v[24:25]
	v_add_f64_e32 v[211:212], v[211:212], v[18:19]
	v_fma_f64 v[18:19], v[181:182], s[10:11], v[215:216]
	s_delay_alu instid0(VALU_DEP_4) | instskip(SKIP_2) | instid1(VALU_DEP_4)
	v_add_f64_e32 v[108:109], v[108:109], v[106:107]
	v_fma_f64 v[106:107], v[181:182], s[10:11], -v[215:216]
	v_mul_f64_e32 v[215:216], s[44:45], v[58:59]
	v_add_f64_e32 v[2:3], v[18:19], v[16:17]
	v_fma_f64 v[16:17], v[179:180], s[10:11], -v[217:218]
	s_delay_alu instid0(VALU_DEP_4)
	v_add_f64_e32 v[106:107], v[106:107], v[104:105]
	v_add_f64_e32 v[104:105], v[110:111], v[108:109]
	v_fma_f64 v[110:111], v[152:153], s[24:25], v[251:252]
	v_mul_f64_e32 v[217:218], s[46:47], v[68:69]
	v_mul_f64_e32 v[18:19], s[38:39], v[30:31]
	v_add_f64_e32 v[0:1], v[16:17], v[211:212]
	v_mul_f64_e32 v[211:212], s[54:55], v[72:73]
	v_mul_f64_e32 v[16:17], s[36:37], v[32:33]
	v_add_f64_e32 v[110:111], v[110:111], v[144:145]
	v_mul_f64_e32 v[144:145], s[46:47], v[60:61]
	s_mov_b32 s55, 0x3fe0d888
	s_mov_b32 s54, s36
	s_wait_alu 0xfffe
	v_mul_f64_e32 v[44:45], s[54:55], v[24:25]
	v_mul_f64_e32 v[40:41], s[54:55], v[72:73]
	scratch_store_b128 off, v[0:3], off offset:272 ; 16-byte Folded Spill
	v_mul_f64_e32 v[0:1], s[40:41], v[60:61]
	v_fma_f64 v[46:47], v[165:166], s[18:19], v[44:45]
	v_fma_f64 v[42:43], v[167:168], s[18:19], -v[40:41]
	s_delay_alu instid0(VALU_DEP_3) | instskip(SKIP_4) | instid1(VALU_DEP_3)
	v_fma_f64 v[108:109], v[245:246], s[24:25], -v[0:1]
	scratch_store_b64 off, v[0:1], off offset:312 ; 8-byte Folded Spill
	v_mul_f64_e32 v[0:1], s[36:37], v[36:37]
	v_add_f64_e32 v[108:109], v[108:109], v[116:117]
	v_fma_f64 v[116:117], v[158:159], s[2:3], -v[171:172]
	v_fma_f64 v[2:3], v[181:182], s[18:19], -v[0:1]
	v_fma_f64 v[0:1], v[181:182], s[18:19], v[0:1]
	s_delay_alu instid0(VALU_DEP_4) | instskip(SKIP_1) | instid1(VALU_DEP_1)
	v_add_f64_e32 v[108:109], v[112:113], v[108:109]
	v_fma_f64 v[112:113], v[156:157], s[30:31], v[215:216]
	v_add_f64_e32 v[110:111], v[112:113], v[110:111]
	v_fma_f64 v[112:113], v[163:164], s[20:21], -v[217:218]
	s_delay_alu instid0(VALU_DEP_1) | instskip(SKIP_1) | instid1(VALU_DEP_1)
	v_add_f64_e32 v[108:109], v[112:113], v[108:109]
	v_fma_f64 v[112:113], v[161:162], s[20:21], v[237:238]
	v_add_f64_e32 v[110:111], v[112:113], v[110:111]
	v_fma_f64 v[112:113], v[167:168], s[10:11], -v[211:212]
	s_delay_alu instid0(VALU_DEP_1) | instskip(SKIP_1) | instid1(VALU_DEP_1)
	;; [unrolled: 5-line block ×5, first 2 shown]
	v_add_f64_e32 v[110:111], v[110:111], v[108:109]
	v_fma_f64 v[108:109], v[179:180], s[26:27], v[18:19]
	v_add_f64_e32 v[108:109], v[108:109], v[112:113]
	v_fma_f64 v[112:113], v[245:246], s[20:21], -v[144:145]
	s_delay_alu instid0(VALU_DEP_1) | instskip(SKIP_1) | instid1(VALU_DEP_2)
	v_add_f64_e32 v[112:113], v[112:113], v[114:115]
	v_fma_f64 v[114:115], v[152:153], s[20:21], v[235:236]
	v_add_f64_e32 v[112:113], v[116:117], v[112:113]
	s_delay_alu instid0(VALU_DEP_2) | instskip(SKIP_4) | instid1(VALU_DEP_2)
	v_add_f64_e32 v[114:115], v[114:115], v[142:143]
	v_fma_f64 v[116:117], v[156:157], s[2:3], v[253:254]
	v_mul_f64_e32 v[142:143], s[40:41], v[22:23]
	s_mov_b32 s41, 0x3fc7851a
	s_mov_b32 s40, s38
	v_add_f64_e32 v[114:115], v[116:117], v[114:115]
	v_fma_f64 v[116:117], v[163:164], s[26:27], -v[247:248]
	s_delay_alu instid0(VALU_DEP_3) | instskip(SKIP_1) | instid1(VALU_DEP_4)
	v_add_f64_e64 v[142:143], v[193:194], -v[142:143]
	v_mul_f64_e32 v[193:194], s[22:23], v[58:59]
	v_add_f64_e32 v[38:39], v[38:39], v[114:115]
	s_delay_alu instid0(VALU_DEP_4) | instskip(SKIP_1) | instid1(VALU_DEP_3)
	v_add_f64_e32 v[112:113], v[116:117], v[112:113]
	v_mul_f64_e32 v[116:117], s[10:11], v[152:153]
	v_add_f64_e32 v[38:39], v[46:47], v[38:39]
	v_mul_f64_e32 v[46:47], s[22:23], v[22:23]
	s_delay_alu instid0(VALU_DEP_4) | instskip(NEXT) | instid1(VALU_DEP_4)
	v_add_f64_e32 v[42:43], v[42:43], v[112:113]
	v_add_f64_e32 v[116:117], v[116:117], v[20:21]
	v_mul_f64_e32 v[20:21], s[36:37], v[22:23]
	v_add_f64_e32 v[38:39], v[50:51], v[38:39]
	v_fma_f64 v[112:113], v[173:174], s[10:11], -v[46:47]
	v_mul_f64_e32 v[50:51], s[42:43], v[26:27]
	v_add_f64_e32 v[116:117], v[116:117], v[241:242]
	v_mul_f64_e32 v[241:242], s[22:23], v[68:69]
	v_add_f64_e32 v[38:39], v[54:55], v[38:39]
	v_add_f64_e32 v[42:43], v[112:113], v[42:43]
	v_fma_f64 v[112:113], v[177:178], s[30:31], -v[50:51]
	v_mul_f64_e32 v[54:55], s[50:51], v[36:37]
	v_add_f64_e32 v[116:117], v[124:125], v[116:117]
	v_mul_f64_e32 v[124:125], s[26:27], v[175:176]
	s_delay_alu instid0(VALU_DEP_4) | instskip(NEXT) | instid1(VALU_DEP_4)
	v_add_f64_e32 v[42:43], v[112:113], v[42:43]
	v_fma_f64 v[112:113], v[181:182], s[16:17], -v[54:55]
	s_delay_alu instid0(VALU_DEP_4) | instskip(NEXT) | instid1(VALU_DEP_4)
	v_add_f64_e32 v[116:117], v[136:137], v[116:117]
	v_add_f64_e32 v[124:125], v[124:125], v[191:192]
	v_mul_f64_e32 v[191:192], s[48:49], v[24:25]
	v_mul_f64_e32 v[136:137], s[30:31], v[179:180]
	v_add_f64_e32 v[114:115], v[112:113], v[42:43]
	v_mul_f64_e32 v[42:43], s[50:51], v[30:31]
	v_add_f64_e32 v[116:117], v[140:141], v[116:117]
	;; [unrolled: 2-line block ×3, first 2 shown]
	v_mul_f64_e32 v[201:202], s[28:29], v[28:29]
	v_fma_f64 v[112:113], v[179:180], s[16:17], v[42:43]
	s_delay_alu instid0(VALU_DEP_1) | instskip(SKIP_1) | instid1(VALU_DEP_1)
	v_add_f64_e32 v[112:113], v[112:113], v[38:39]
	v_mul_f64_e32 v[38:39], s[22:23], v[60:61]
	v_add_f64_e64 v[38:39], v[66:67], -v[38:39]
	v_dual_mov_b32 v67, v23 :: v_dual_mov_b32 v66, v22
	v_fma_f64 v[22:23], v[173:174], s[18:19], -v[20:21]
	v_fma_f64 v[20:21], v[173:174], s[18:19], v[20:21]
	s_delay_alu instid0(VALU_DEP_4) | instskip(SKIP_1) | instid1(VALU_DEP_2)
	v_add_f64_e32 v[38:39], v[38:39], v[239:240]
	v_mul_f64_e32 v[239:240], s[24:25], v[169:170]
	v_add_f64_e32 v[38:39], v[118:119], v[38:39]
	v_mul_f64_e32 v[118:119], s[38:39], v[26:27]
	s_delay_alu instid0(VALU_DEP_3)
	v_add_f64_e32 v[239:240], v[239:240], v[187:188]
	v_mul_f64_e32 v[187:188], s[48:49], v[72:73]
	v_fma_f64 v[26:27], v[169:170], s[18:19], v[154:155]
	v_add_f64_e32 v[38:39], v[126:127], v[38:39]
	v_add_f64_e64 v[118:119], v[203:204], -v[118:119]
	v_mul_f64_e32 v[126:127], s[42:43], v[36:37]
	v_add_f64_e32 v[116:117], v[239:240], v[116:117]
	s_wait_alu 0xfffe
	v_mul_f64_e32 v[239:240], s[40:41], v[58:59]
	v_mul_f64_e32 v[203:204], s[50:51], v[62:63]
	v_add_f64_e32 v[38:39], v[138:139], v[38:39]
	v_mul_f64_e32 v[138:139], s[38:39], v[56:57]
	v_add_f64_e64 v[126:127], v[100:101], -v[126:127]
	v_add_f64_e32 v[116:117], v[124:125], v[116:117]
	v_mul_f64_e32 v[100:101], s[48:49], v[58:59]
	v_add_f64_e32 v[38:39], v[142:143], v[38:39]
	v_mul_f64_e32 v[142:143], s[40:41], v[64:65]
	s_delay_alu instid0(VALU_DEP_4) | instskip(SKIP_3) | instid1(VALU_DEP_1)
	v_add_f64_e32 v[116:117], v[136:137], v[116:117]
	v_mul_f64_e32 v[136:137], s[38:39], v[60:61]
	v_fma_f64 v[102:103], v[156:157], s[24:25], v[100:101]
	v_add_f64_e32 v[38:39], v[118:119], v[38:39]
	v_add_f64_e32 v[118:119], v[126:127], v[38:39]
	v_mul_f64_e32 v[38:39], s[14:15], v[60:61]
	v_fma_f64 v[126:127], v[152:153], s[26:27], v[138:139]
	s_delay_alu instid0(VALU_DEP_2) | instskip(NEXT) | instid1(VALU_DEP_2)
	v_fma_f64 v[124:125], v[245:246], s[2:3], -v[38:39]
	v_add_f64_e32 v[126:127], v[126:127], v[134:135]
	v_mul_f64_e32 v[134:135], s[48:49], v[64:65]
	v_mul_f64_e32 v[64:65], s[34:35], v[66:67]
	s_delay_alu instid0(VALU_DEP_4) | instskip(SKIP_1) | instid1(VALU_DEP_3)
	v_add_f64_e32 v[120:121], v[124:125], v[120:121]
	v_fma_f64 v[124:125], v[152:153], s[2:3], v[140:141]
	v_fma_f64 v[66:67], v[173:174], s[20:21], -v[64:65]
	s_delay_alu instid0(VALU_DEP_2) | instskip(SKIP_1) | instid1(VALU_DEP_1)
	v_add_f64_e32 v[122:123], v[124:125], v[122:123]
	v_fma_f64 v[124:125], v[158:159], s[26:27], -v[142:143]
	v_add_f64_e32 v[120:121], v[124:125], v[120:121]
	v_fma_f64 v[124:125], v[156:157], s[26:27], v[239:240]
	s_delay_alu instid0(VALU_DEP_1) | instskip(SKIP_1) | instid1(VALU_DEP_1)
	v_add_f64_e32 v[122:123], v[124:125], v[122:123]
	v_fma_f64 v[124:125], v[163:164], s[10:11], -v[241:242]
	v_add_f64_e32 v[120:121], v[124:125], v[120:121]
	v_fma_f64 v[124:125], v[161:162], s[10:11], v[183:184]
	s_delay_alu instid0(VALU_DEP_1) | instskip(SKIP_1) | instid1(VALU_DEP_1)
	;; [unrolled: 5-line block ×4, first 2 shown]
	v_add_f64_e32 v[122:123], v[124:125], v[122:123]
	v_fma_f64 v[124:125], v[177:178], s[20:21], -v[205:206]
	v_add_f64_e32 v[120:121], v[124:125], v[120:121]
	v_fma_f64 v[124:125], v[175:176], s[20:21], v[185:186]
	s_delay_alu instid0(VALU_DEP_1) | instskip(NEXT) | instid1(VALU_DEP_3)
	v_add_f64_e32 v[124:125], v[124:125], v[122:123]
	v_add_f64_e32 v[122:123], v[2:3], v[120:121]
	v_mul_f64_e32 v[2:3], s[36:37], v[30:31]
	v_fma_f64 v[30:31], v[177:178], s[2:3], -v[221:222]
	s_delay_alu instid0(VALU_DEP_2) | instskip(SKIP_1) | instid1(VALU_DEP_2)
	v_fma_f64 v[120:121], v[179:180], s[18:19], v[2:3]
	v_fma_f64 v[2:3], v[179:180], s[18:19], -v[2:3]
	v_add_f64_e32 v[120:121], v[120:121], v[124:125]
	v_fma_f64 v[124:125], v[245:246], s[26:27], -v[136:137]
	s_delay_alu instid0(VALU_DEP_1) | instskip(SKIP_1) | instid1(VALU_DEP_1)
	v_add_f64_e32 v[124:125], v[124:125], v[132:133]
	v_fma_f64 v[132:133], v[158:159], s[10:11], -v[189:190]
	v_add_f64_e32 v[124:125], v[132:133], v[124:125]
	v_fma_f64 v[132:133], v[156:157], s[10:11], v[193:194]
	s_delay_alu instid0(VALU_DEP_1) | instskip(SKIP_1) | instid1(VALU_DEP_1)
	v_add_f64_e32 v[126:127], v[132:133], v[126:127]
	v_fma_f64 v[132:133], v[163:164], s[16:17], -v[199:200]
	v_add_f64_e32 v[124:125], v[132:133], v[124:125]
	v_fma_f64 v[132:133], v[161:162], s[16:17], v[203:204]
	;; [unrolled: 5-line block ×3, first 2 shown]
	s_delay_alu instid0(VALU_DEP_2) | instskip(NEXT) | instid1(VALU_DEP_2)
	v_add_f64_e32 v[22:23], v[22:23], v[124:125]
	v_add_f64_e32 v[126:127], v[132:133], v[126:127]
	v_mul_f64_e32 v[132:133], s[54:55], v[56:57]
	v_mul_f64_e32 v[56:57], s[44:45], v[68:69]
	;; [unrolled: 1-line block ×3, first 2 shown]
	v_add_f64_e32 v[22:23], v[30:31], v[22:23]
	v_mul_f64_e32 v[30:31], s[52:53], v[32:33]
	v_add_f64_e32 v[26:27], v[26:27], v[126:127]
	v_fma_f64 v[58:59], v[163:164], s[30:31], -v[56:57]
	v_fma_f64 v[70:71], v[177:178], s[16:17], -v[68:69]
	v_add_f64_e32 v[126:127], v[34:35], v[22:23]
	v_fma_f64 v[124:125], v[175:176], s[2:3], v[30:31]
	v_mul_f64_e32 v[22:23], s[48:49], v[74:75]
	v_mul_f64_e32 v[74:75], s[14:15], v[74:75]
	s_delay_alu instid0(VALU_DEP_3) | instskip(NEXT) | instid1(VALU_DEP_3)
	v_add_f64_e32 v[26:27], v[124:125], v[26:27]
	v_fma_f64 v[34:35], v[179:180], s[24:25], v[22:23]
	v_fma_f64 v[22:23], v[179:180], s[24:25], -v[22:23]
	s_delay_alu instid0(VALU_DEP_2) | instskip(SKIP_3) | instid1(VALU_DEP_3)
	v_add_f64_e32 v[124:125], v[34:35], v[26:27]
	v_mul_f64_e32 v[26:27], s[54:55], v[60:61]
	v_mul_f64_e32 v[60:61], s[38:39], v[72:73]
	;; [unrolled: 1-line block ×3, first 2 shown]
	v_fma_f64 v[34:35], v[245:246], s[18:19], -v[26:27]
	v_fma_f64 v[26:27], v[245:246], s[18:19], v[26:27]
	s_delay_alu instid0(VALU_DEP_2) | instskip(SKIP_1) | instid1(VALU_DEP_3)
	v_add_f64_e32 v[34:35], v[34:35], v[128:129]
	v_fma_f64 v[128:129], v[152:153], s[18:19], v[132:133]
	v_add_f64_e32 v[12:13], v[26:27], v[12:13]
	v_fma_f64 v[26:27], v[152:153], s[18:19], -v[132:133]
	s_delay_alu instid0(VALU_DEP_3) | instskip(SKIP_1) | instid1(VALU_DEP_3)
	v_add_f64_e32 v[128:129], v[128:129], v[130:131]
	v_fma_f64 v[130:131], v[158:159], s[24:25], -v[134:135]
	v_add_f64_e32 v[26:27], v[26:27], v[146:147]
	s_delay_alu instid0(VALU_DEP_3) | instskip(NEXT) | instid1(VALU_DEP_3)
	v_add_f64_e32 v[102:103], v[102:103], v[128:129]
	v_add_f64_e32 v[34:35], v[130:131], v[34:35]
	s_delay_alu instid0(VALU_DEP_1) | instskip(SKIP_2) | instid1(VALU_DEP_2)
	v_add_f64_e32 v[34:35], v[58:59], v[34:35]
	v_mul_f64_e32 v[58:59], s[44:45], v[62:63]
	v_fma_f64 v[62:63], v[167:168], s[26:27], -v[60:61]
	v_fma_f64 v[128:129], v[161:162], s[30:31], v[58:59]
	s_delay_alu instid0(VALU_DEP_2) | instskip(SKIP_2) | instid1(VALU_DEP_4)
	v_add_f64_e32 v[34:35], v[62:63], v[34:35]
	v_mul_f64_e32 v[62:63], s[38:39], v[24:25]
	v_fma_f64 v[24:25], v[177:178], s[2:3], v[221:222]
	v_add_f64_e32 v[102:103], v[128:129], v[102:103]
	s_delay_alu instid0(VALU_DEP_4) | instskip(NEXT) | instid1(VALU_DEP_4)
	v_add_f64_e32 v[34:35], v[66:67], v[34:35]
	v_fma_f64 v[128:129], v[165:166], s[26:27], v[62:63]
	v_mul_f64_e32 v[66:67], s[34:35], v[28:29]
	s_delay_alu instid0(VALU_DEP_3) | instskip(NEXT) | instid1(VALU_DEP_3)
	v_add_f64_e32 v[34:35], v[70:71], v[34:35]
	v_add_f64_e32 v[102:103], v[128:129], v[102:103]
	s_delay_alu instid0(VALU_DEP_3) | instskip(SKIP_1) | instid1(VALU_DEP_2)
	v_fma_f64 v[128:129], v[169:170], s[20:21], v[66:67]
	v_mul_f64_e32 v[70:71], s[28:29], v[32:33]
	v_add_f64_e32 v[102:103], v[128:129], v[102:103]
	s_delay_alu instid0(VALU_DEP_2) | instskip(NEXT) | instid1(VALU_DEP_1)
	v_fma_f64 v[128:129], v[175:176], s[16:17], v[70:71]
	v_add_f64_e32 v[102:103], v[128:129], v[102:103]
	v_fma_f64 v[128:129], v[181:182], s[2:3], -v[72:73]
	s_delay_alu instid0(VALU_DEP_1) | instskip(SKIP_1) | instid1(VALU_DEP_1)
	v_add_f64_e32 v[130:131], v[128:129], v[34:35]
	v_fma_f64 v[34:35], v[179:180], s[2:3], v[74:75]
	v_add_f64_e32 v[128:129], v[34:35], v[102:103]
	v_fma_f64 v[34:35], v[158:159], s[24:25], v[134:135]
	s_delay_alu instid0(VALU_DEP_1) | instskip(SKIP_1) | instid1(VALU_DEP_1)
	v_add_f64_e32 v[12:13], v[34:35], v[12:13]
	v_fma_f64 v[34:35], v[156:157], s[24:25], -v[100:101]
	v_add_f64_e32 v[26:27], v[34:35], v[26:27]
	v_fma_f64 v[34:35], v[163:164], s[30:31], v[56:57]
	v_fma_f64 v[56:57], v[179:180], s[2:3], -v[74:75]
	s_delay_alu instid0(VALU_DEP_2) | instskip(SKIP_1) | instid1(VALU_DEP_1)
	v_add_f64_e32 v[12:13], v[34:35], v[12:13]
	v_fma_f64 v[34:35], v[161:162], s[30:31], -v[58:59]
	v_add_f64_e32 v[26:27], v[34:35], v[26:27]
	v_fma_f64 v[34:35], v[167:168], s[26:27], v[60:61]
	s_delay_alu instid0(VALU_DEP_1) | instskip(SKIP_1) | instid1(VALU_DEP_1)
	v_add_f64_e32 v[12:13], v[34:35], v[12:13]
	v_fma_f64 v[34:35], v[165:166], s[26:27], -v[62:63]
	v_add_f64_e32 v[26:27], v[34:35], v[26:27]
	v_fma_f64 v[34:35], v[173:174], s[20:21], v[64:65]
	s_delay_alu instid0(VALU_DEP_1) | instskip(SKIP_1) | instid1(VALU_DEP_1)
	;; [unrolled: 5-line block ×3, first 2 shown]
	v_add_f64_e32 v[12:13], v[34:35], v[12:13]
	v_fma_f64 v[34:35], v[175:176], s[16:17], -v[70:71]
	v_add_f64_e32 v[26:27], v[34:35], v[26:27]
	v_fma_f64 v[34:35], v[181:182], s[2:3], v[72:73]
	s_delay_alu instid0(VALU_DEP_2) | instskip(NEXT) | instid1(VALU_DEP_2)
	v_add_f64_e32 v[132:133], v[56:57], v[26:27]
	v_add_f64_e32 v[134:135], v[34:35], v[12:13]
	v_fma_f64 v[12:13], v[245:246], s[26:27], v[136:137]
	v_fma_f64 v[26:27], v[152:153], s[26:27], -v[138:139]
	v_fma_f64 v[34:35], v[158:159], s[10:11], v[189:190]
	s_delay_alu instid0(VALU_DEP_3)
	v_add_f64_e32 v[12:13], v[12:13], v[14:15]
	scratch_load_b64 v[14:15], off, off offset:304 th:TH_LOAD_LU ; 8-byte Folded Reload
	v_add_f64_e32 v[12:13], v[34:35], v[12:13]
	v_fma_f64 v[34:35], v[156:157], s[10:11], -v[193:194]
	s_wait_loadcnt 0x0
	v_add_f64_e32 v[26:27], v[26:27], v[14:15]
	scratch_load_b64 v[14:15], off, off offset:296 th:TH_LOAD_LU ; 8-byte Folded Reload
	v_add_f64_e32 v[26:27], v[34:35], v[26:27]
	v_fma_f64 v[34:35], v[163:164], s[16:17], v[199:200]
	s_delay_alu instid0(VALU_DEP_1) | instskip(SKIP_1) | instid1(VALU_DEP_1)
	v_add_f64_e32 v[12:13], v[34:35], v[12:13]
	v_fma_f64 v[34:35], v[161:162], s[16:17], -v[203:204]
	v_add_f64_e32 v[26:27], v[34:35], v[26:27]
	v_fma_f64 v[34:35], v[167:168], s[30:31], v[207:208]
	s_delay_alu instid0(VALU_DEP_1) | instskip(SKIP_1) | instid1(VALU_DEP_2)
	v_add_f64_e32 v[12:13], v[34:35], v[12:13]
	v_fma_f64 v[34:35], v[165:166], s[30:31], -v[213:214]
	v_add_f64_e32 v[12:13], v[20:21], v[12:13]
	s_delay_alu instid0(VALU_DEP_2) | instskip(SKIP_1) | instid1(VALU_DEP_3)
	v_add_f64_e32 v[26:27], v[34:35], v[26:27]
	v_fma_f64 v[20:21], v[169:170], s[18:19], -v[154:155]
	v_add_f64_e32 v[12:13], v[24:25], v[12:13]
	v_fma_f64 v[24:25], v[175:176], s[2:3], -v[30:31]
	s_delay_alu instid0(VALU_DEP_3) | instskip(NEXT) | instid1(VALU_DEP_1)
	v_add_f64_e32 v[20:21], v[20:21], v[26:27]
	v_add_f64_e32 v[20:21], v[24:25], v[20:21]
	v_fma_f64 v[24:25], v[181:182], s[24:25], v[219:220]
	s_delay_alu instid0(VALU_DEP_2) | instskip(NEXT) | instid1(VALU_DEP_2)
	v_add_f64_e32 v[136:137], v[22:23], v[20:21]
	v_add_f64_e32 v[138:139], v[24:25], v[12:13]
	v_fma_f64 v[12:13], v[245:246], s[2:3], v[38:39]
	v_fma_f64 v[20:21], v[152:153], s[2:3], -v[140:141]
	s_wait_loadcnt 0x0
	s_delay_alu instid0(VALU_DEP_2) | instskip(SKIP_4) | instid1(VALU_DEP_1)
	v_add_f64_e32 v[12:13], v[12:13], v[14:15]
	scratch_load_b64 v[14:15], off, off offset:288 th:TH_LOAD_LU ; 8-byte Folded Reload
	s_wait_loadcnt 0x0
	v_add_f64_e32 v[14:15], v[20:21], v[14:15]
	v_fma_f64 v[20:21], v[158:159], s[26:27], v[142:143]
	v_add_f64_e32 v[12:13], v[20:21], v[12:13]
	v_fma_f64 v[20:21], v[156:157], s[26:27], -v[239:240]
	s_delay_alu instid0(VALU_DEP_1) | instskip(SKIP_1) | instid1(VALU_DEP_1)
	v_add_f64_e32 v[14:15], v[20:21], v[14:15]
	v_fma_f64 v[20:21], v[163:164], s[10:11], v[241:242]
	v_add_f64_e32 v[12:13], v[20:21], v[12:13]
	v_fma_f64 v[20:21], v[161:162], s[10:11], -v[183:184]
	s_delay_alu instid0(VALU_DEP_1) | instskip(SKIP_1) | instid1(VALU_DEP_1)
	v_add_f64_e32 v[14:15], v[20:21], v[14:15]
	v_fma_f64 v[20:21], v[167:168], s[24:25], v[187:188]
	v_add_f64_e32 v[12:13], v[20:21], v[12:13]
	v_fma_f64 v[20:21], v[165:166], s[24:25], -v[191:192]
	s_delay_alu instid0(VALU_DEP_1)
	v_add_f64_e32 v[14:15], v[20:21], v[14:15]
	v_fma_f64 v[20:21], v[173:174], s[16:17], v[197:198]
	v_dual_mov_b32 v200, v7 :: v_dual_mov_b32 v199, v6
	v_dual_mov_b32 v198, v5 :: v_dual_mov_b32 v197, v4
	scratch_load_b64 v[4:5], off, off offset:256 th:TH_LOAD_LU ; 8-byte Folded Reload
	v_add_f64_e32 v[12:13], v[20:21], v[12:13]
	v_fma_f64 v[20:21], v[169:170], s[16:17], -v[201:202]
	s_delay_alu instid0(VALU_DEP_1) | instskip(SKIP_1) | instid1(VALU_DEP_1)
	v_add_f64_e32 v[14:15], v[20:21], v[14:15]
	v_fma_f64 v[20:21], v[177:178], s[20:21], v[205:206]
	v_add_f64_e32 v[12:13], v[20:21], v[12:13]
	v_fma_f64 v[20:21], v[175:176], s[20:21], -v[185:186]
	s_delay_alu instid0(VALU_DEP_2) | instskip(NEXT) | instid1(VALU_DEP_2)
	v_add_f64_e32 v[142:143], v[0:1], v[12:13]
	v_add_f64_e32 v[14:15], v[20:21], v[14:15]
	v_fma_f64 v[0:1], v[245:246], s[20:21], v[144:145]
	v_fma_f64 v[12:13], v[158:159], s[2:3], v[171:172]
	;; [unrolled: 1-line block ×3, first 2 shown]
	s_delay_alu instid0(VALU_DEP_4)
	v_add_f64_e32 v[140:141], v[2:3], v[14:15]
	scratch_load_b64 v[2:3], off, off offset:264 th:TH_LOAD_LU ; 8-byte Folded Reload
	v_fma_f64 v[14:15], v[179:180], s[16:17], -v[42:43]
	s_wait_loadcnt 0x0
	v_add_f64_e32 v[0:1], v[0:1], v[2:3]
	v_fma_f64 v[2:3], v[152:153], s[20:21], -v[235:236]
	s_delay_alu instid0(VALU_DEP_2) | instskip(NEXT) | instid1(VALU_DEP_2)
	v_add_f64_e32 v[0:1], v[12:13], v[0:1]
	v_add_f64_e32 v[2:3], v[2:3], v[4:5]
	v_fma_f64 v[12:13], v[156:157], s[2:3], -v[253:254]
	scratch_load_b64 v[4:5], off, off offset:232 th:TH_LOAD_LU ; 8-byte Folded Reload
	v_add_f64_e32 v[2:3], v[12:13], v[2:3]
	v_fma_f64 v[12:13], v[163:164], s[26:27], v[247:248]
	s_delay_alu instid0(VALU_DEP_1) | instskip(SKIP_1) | instid1(VALU_DEP_1)
	v_add_f64_e32 v[0:1], v[12:13], v[0:1]
	v_fma_f64 v[12:13], v[161:162], s[26:27], -v[8:9]
	v_add_f64_e32 v[2:3], v[12:13], v[2:3]
	v_fma_f64 v[12:13], v[167:168], s[18:19], v[40:41]
	s_delay_alu instid0(VALU_DEP_1) | instskip(SKIP_1) | instid1(VALU_DEP_1)
	v_add_f64_e32 v[0:1], v[12:13], v[0:1]
	v_fma_f64 v[12:13], v[165:166], s[18:19], -v[44:45]
	;; [unrolled: 5-line block ×4, first 2 shown]
	v_add_f64_e32 v[2:3], v[12:13], v[2:3]
	v_fma_f64 v[12:13], v[181:182], s[16:17], v[54:55]
	s_delay_alu instid0(VALU_DEP_2) | instskip(NEXT) | instid1(VALU_DEP_2)
	v_add_f64_e32 v[144:145], v[14:15], v[2:3]
	v_add_f64_e32 v[146:147], v[12:13], v[0:1]
	scratch_load_b64 v[0:1], off, off offset:312 th:TH_LOAD_LU ; 8-byte Folded Reload
	v_fma_f64 v[2:3], v[152:153], s[24:25], -v[251:252]
	v_fma_f64 v[12:13], v[158:159], s[30:31], v[243:244]
	v_fma_f64 v[14:15], v[156:157], s[30:31], -v[215:216]
	s_wait_loadcnt 0x0
	v_fma_f64 v[0:1], v[245:246], s[24:25], v[0:1]
	s_delay_alu instid0(VALU_DEP_1) | instskip(SKIP_3) | instid1(VALU_DEP_2)
	v_add_f64_e32 v[0:1], v[0:1], v[4:5]
	scratch_load_b64 v[4:5], off, off offset:224 th:TH_LOAD_LU ; 8-byte Folded Reload
	v_add_f64_e32 v[0:1], v[12:13], v[0:1]
	v_fma_f64 v[12:13], v[161:162], s[20:21], -v[237:238]
	v_add_f64_e32 v[0:1], v[20:21], v[0:1]
	v_fma_f64 v[20:21], v[165:166], s[10:11], -v[209:210]
	s_wait_loadcnt 0x0
	v_add_f64_e32 v[2:3], v[2:3], v[4:5]
	s_delay_alu instid0(VALU_DEP_1) | instskip(SKIP_1) | instid1(VALU_DEP_2)
	v_add_f64_e32 v[2:3], v[14:15], v[2:3]
	v_fma_f64 v[14:15], v[167:168], s[10:11], v[211:212]
	v_add_f64_e32 v[2:3], v[12:13], v[2:3]
	v_fma_f64 v[12:13], v[173:174], s[2:3], v[195:196]
	s_delay_alu instid0(VALU_DEP_3) | instskip(SKIP_1) | instid1(VALU_DEP_4)
	v_add_f64_e32 v[0:1], v[14:15], v[0:1]
	v_fma_f64 v[14:15], v[169:170], s[2:3], -v[150:151]
	v_add_f64_e32 v[2:3], v[20:21], v[2:3]
	v_fma_f64 v[20:21], v[177:178], s[18:19], v[148:149]
	s_delay_alu instid0(VALU_DEP_4) | instskip(SKIP_1) | instid1(VALU_DEP_4)
	v_add_f64_e32 v[0:1], v[12:13], v[0:1]
	v_fma_f64 v[12:13], v[175:176], s[18:19], -v[16:17]
	v_add_f64_e32 v[2:3], v[14:15], v[2:3]
	v_fma_f64 v[14:15], v[181:182], s[26:27], v[10:11]
	s_delay_alu instid0(VALU_DEP_4) | instskip(SKIP_1) | instid1(VALU_DEP_4)
	v_add_f64_e32 v[0:1], v[20:21], v[0:1]
	v_fma_f64 v[20:21], v[179:180], s[26:27], -v[18:19]
	v_add_f64_e32 v[2:3], v[12:13], v[2:3]
	s_delay_alu instid0(VALU_DEP_3)
	v_add_f64_e32 v[14:15], v[14:15], v[0:1]
	s_clause 0x1
	scratch_load_b32 v0, off, off
	scratch_load_b32 v1, off, off offset:12 th:TH_LOAD_LU
	v_add_f64_e32 v[12:13], v[20:21], v[2:3]
	s_wait_loadcnt 0x1
	v_mul_lo_u16 v0, v0, 17
	s_delay_alu instid0(VALU_DEP_1) | instskip(SKIP_1) | instid1(VALU_DEP_1)
	v_and_b32_e32 v0, 0xffff, v0
	s_wait_loadcnt 0x0
	v_lshl_add_u32 v0, v0, 4, v1
	scratch_load_b128 v[1:4], off, off offset:192 th:TH_LOAD_LU ; 16-byte Folded Reload
	s_wait_loadcnt 0x0
	ds_store_b128 v0, v[1:4]
	ds_store_b128 v0, v[108:111] offset:16
	ds_store_b128 v0, v[112:115] offset:32
	;; [unrolled: 1-line block ×7, first 2 shown]
	scratch_load_b128 v[1:4], off, off offset:240 th:TH_LOAD_LU ; 16-byte Folded Reload
	s_wait_loadcnt 0x0
	ds_store_b128 v0, v[1:4] offset:128
	scratch_load_b128 v[1:4], off, off offset:208 th:TH_LOAD_LU ; 16-byte Folded Reload
	s_wait_loadcnt 0x0
	ds_store_b128 v0, v[1:4] offset:144
	;; [unrolled: 3-line block ×3, first 2 shown]
	ds_store_b128 v0, v[197:200] offset:176
	ds_store_b128 v0, v[132:135] offset:192
	;; [unrolled: 1-line block ×6, first 2 shown]
.LBB0_17:
	s_wait_alu 0xfffe
	s_or_b32 exec_lo, exec_lo, s1
	global_wb scope:SCOPE_SE
	s_wait_storecnt_dscnt 0x0
	s_barrier_signal -1
	s_barrier_wait -1
	global_inv scope:SCOPE_SE
	scratch_load_b128 v[22:25], off, off offset:32 th:TH_LOAD_LU ; 16-byte Folded Reload
	ds_load_b128 v[0:3], v160 offset:1632
	ds_load_b128 v[6:9], v160 offset:16320
	;; [unrolled: 1-line block ×5, first 2 shown]
	scratch_load_b128 v[64:67], off, off offset:16 th:TH_LOAD_LU ; 16-byte Folded Reload
	ds_load_b128 v[108:111], v160 offset:13056
	ds_load_b128 v[112:115], v160 offset:6528
	;; [unrolled: 1-line block ×4, first 2 shown]
	s_clause 0x1
	scratch_load_b128 v[68:71], off, off offset:48 th:TH_LOAD_LU
	scratch_load_b128 v[72:75], off, off offset:64 th:TH_LOAD_LU
	s_mov_b32 s2, 0xf8bb580b
	s_mov_b32 s10, 0x8764f0ba
	s_mov_b32 s16, 0x8eee2c13
	s_mov_b32 s18, 0xd9c712b6
	s_mov_b32 s3, 0xbfe14ced
	s_mov_b32 s11, 0x3feaeb8c
	s_mov_b32 s17, 0xbfed1bb4
	s_mov_b32 s19, 0x3fda9628
	s_mov_b32 s22, 0x43842ef
	s_mov_b32 s24, 0x640f44db
	s_mov_b32 s23, 0xbfefac9e
	s_mov_b32 s25, 0xbfc2375f
	s_mov_b32 s28, 0xbb3a28a1
	s_mov_b32 s30, 0x7f775887
	s_wait_dscnt 0x3
	v_mul_f64_e32 v[38:39], v[90:91], v[108:109]
	v_mul_f64_e32 v[36:37], v[82:83], v[104:105]
	;; [unrolled: 1-line block ×3, first 2 shown]
	s_wait_dscnt 0x2
	v_mul_f64_e32 v[50:51], v[78:79], v[112:113]
	s_wait_dscnt 0x0
	v_mul_f64_e32 v[52:53], v[86:87], v[122:123]
	v_mul_f64_e32 v[46:47], v[78:79], v[114:115]
	v_mul_f64_e32 v[48:49], v[90:91], v[110:111]
	v_mul_f64_e32 v[58:59], v[98:99], v[116:117]
	v_mul_f64_e32 v[54:55], v[86:87], v[120:121]
	v_mul_f64_e32 v[56:57], v[98:99], v[118:119]
	s_mov_b32 s29, 0xbfe82f19
	s_mov_b32 s31, 0xbfe4f49e
	;; [unrolled: 1-line block ×8, first 2 shown]
	s_wait_alu 0xfffe
	s_mov_b32 s14, s2
	s_mov_b32 s20, s16
	;; [unrolled: 1-line block ×8, first 2 shown]
	s_wait_loadcnt 0x3
	v_mul_f64_e32 v[4:5], v[24:25], v[2:3]
	v_mul_f64_e32 v[18:19], v[24:25], v[0:1]
	ds_load_b128 v[24:27], v160 offset:9792
	s_wait_loadcnt 0x2
	v_mul_f64_e32 v[20:21], v[66:67], v[6:7]
	v_mul_f64_e32 v[40:41], v[66:67], v[8:9]
	s_wait_loadcnt 0x1
	v_mul_f64_e32 v[28:29], v[70:71], v[10:11]
	s_wait_loadcnt 0x0
	v_mul_f64_e32 v[30:31], v[74:75], v[14:15]
	v_mul_f64_e32 v[32:33], v[70:71], v[12:13]
	;; [unrolled: 1-line block ×3, first 2 shown]
	v_fma_f64 v[34:35], v[22:23], v[0:1], v[4:5]
	v_fma_f64 v[18:19], v[22:23], v[2:3], -v[18:19]
	ds_load_b128 v[0:3], v160
	s_wait_dscnt 0x1
	v_mul_f64_e32 v[62:63], v[94:95], v[24:25]
	v_fma_f64 v[22:23], v[64:65], v[8:9], -v[20:21]
	v_fma_f64 v[12:13], v[68:69], v[12:13], -v[28:29]
	;; [unrolled: 1-line block ×3, first 2 shown]
	v_fma_f64 v[16:17], v[68:69], v[10:11], v[32:33]
	v_fma_f64 v[32:33], v[80:81], v[106:107], -v[36:37]
	v_fma_f64 v[8:9], v[88:89], v[110:111], -v[38:39]
	v_fma_f64 v[20:21], v[64:65], v[6:7], v[40:41]
	v_fma_f64 v[36:37], v[80:81], v[104:105], v[42:43]
	v_fma_f64 v[38:39], v[76:77], v[114:115], -v[50:51]
	v_fma_f64 v[40:41], v[84:85], v[120:121], v[52:53]
	v_mul_f64_e32 v[60:61], v[94:95], v[26:27]
	v_fma_f64 v[6:7], v[72:73], v[14:15], v[44:45]
	v_fma_f64 v[14:15], v[76:77], v[112:113], v[46:47]
	;; [unrolled: 1-line block ×3, first 2 shown]
	v_fma_f64 v[46:47], v[96:97], v[118:119], -v[58:59]
	v_fma_f64 v[42:43], v[84:85], v[122:123], -v[54:55]
	v_fma_f64 v[44:45], v[96:97], v[116:117], v[56:57]
	global_wb scope:SCOPE_SE
	s_wait_dscnt 0x0
	s_barrier_signal -1
	s_barrier_wait -1
	global_inv scope:SCOPE_SE
	v_add_f64_e32 v[28:29], v[0:1], v[34:35]
	v_add_f64_e32 v[30:31], v[2:3], v[18:19]
	v_fma_f64 v[26:27], v[92:93], v[26:27], -v[62:63]
	v_add_f64_e64 v[48:49], v[18:19], -v[22:23]
	v_add_f64_e32 v[18:19], v[18:19], v[22:23]
	v_add_f64_e64 v[50:51], v[12:13], -v[4:5]
	v_add_f64_e32 v[52:53], v[12:13], v[4:5]
	v_add_f64_e32 v[54:55], v[32:33], v[8:9]
	;; [unrolled: 1-line block ×3, first 2 shown]
	v_add_f64_e64 v[34:35], v[34:35], -v[20:21]
	v_fma_f64 v[24:25], v[92:93], v[24:25], v[60:61]
	v_add_f64_e32 v[58:59], v[16:17], v[6:7]
	v_add_f64_e32 v[64:65], v[14:15], v[40:41]
	v_add_f64_e64 v[70:71], v[14:15], -v[40:41]
	v_add_f64_e32 v[60:61], v[36:37], v[10:11]
	v_add_f64_e32 v[66:67], v[38:39], v[42:43]
	v_add_f64_e64 v[68:69], v[38:39], -v[42:43]
	v_add_f64_e64 v[62:63], v[36:37], -v[10:11]
	v_add_f64_e32 v[28:29], v[28:29], v[16:17]
	v_add_f64_e32 v[12:13], v[30:31], v[12:13]
	v_add_f64_e64 v[30:31], v[32:33], -v[8:9]
	v_add_f64_e32 v[74:75], v[46:47], v[26:27]
	v_mul_f64_e32 v[80:81], s[2:3], v[48:49]
	v_mul_f64_e32 v[82:83], s[10:11], v[18:19]
	;; [unrolled: 1-line block ×10, first 2 shown]
	v_add_f64_e64 v[16:17], v[16:17], -v[6:7]
	v_mul_f64_e32 v[96:97], s[16:17], v[50:51]
	v_mul_f64_e32 v[98:99], s[18:19], v[52:53]
	;; [unrolled: 1-line block ×4, first 2 shown]
	s_wait_alu 0xfffe
	v_mul_f64_e32 v[104:105], s[26:27], v[50:51]
	v_mul_f64_e32 v[106:107], s[24:25], v[52:53]
	;; [unrolled: 1-line block ×6, first 2 shown]
	v_add_f64_e32 v[72:73], v[44:45], v[24:25]
	v_add_f64_e64 v[76:77], v[44:45], -v[24:25]
	v_add_f64_e64 v[78:79], v[46:47], -v[26:27]
	v_mul_f64_e32 v[54:55], s[30:31], v[54:55]
	v_mul_f64_e32 v[124:125], s[28:29], v[68:69]
	;; [unrolled: 1-line block ×10, first 2 shown]
	v_add_f64_e32 v[28:29], v[28:29], v[36:37]
	v_add_f64_e32 v[12:13], v[12:13], v[32:33]
	v_mul_f64_e32 v[32:33], s[30:31], v[52:53]
	v_mul_f64_e32 v[142:143], s[38:39], v[74:75]
	;; [unrolled: 1-line block ×5, first 2 shown]
	v_fma_f64 v[156:157], v[56:57], s[18:19], v[84:85]
	v_fma_f64 v[158:159], v[34:35], s[20:21], v[86:87]
	v_mul_f64_e32 v[36:37], s[40:41], v[50:51]
	v_fma_f64 v[84:85], v[56:57], s[18:19], -v[84:85]
	v_fma_f64 v[161:162], v[56:57], s[24:25], v[88:89]
	v_fma_f64 v[163:164], v[34:35], s[26:27], v[90:91]
	v_fma_f64 v[88:89], v[56:57], s[24:25], -v[88:89]
	v_fma_f64 v[165:166], v[56:57], s[30:31], v[92:93]
	v_fma_f64 v[167:168], v[34:35], s[34:35], v[94:95]
	v_mul_f64_e32 v[50:51], s[14:15], v[50:51]
	v_mul_f64_e32 v[52:53], s[10:11], v[52:53]
	v_fma_f64 v[92:93], v[56:57], s[30:31], -v[92:93]
	v_fma_f64 v[169:170], v[56:57], s[38:39], v[48:49]
	v_fma_f64 v[171:172], v[34:35], s[40:41], v[18:19]
	v_fma_f64 v[48:49], v[56:57], s[38:39], -v[48:49]
	v_fma_f64 v[18:19], v[34:35], s[36:37], v[18:19]
	v_fma_f64 v[94:95], v[34:35], s[28:29], v[94:95]
	;; [unrolled: 1-line block ×4, first 2 shown]
	v_mul_f64_e32 v[108:109], s[22:23], v[30:31]
	v_mul_f64_e32 v[112:113], s[40:41], v[30:31]
	v_fma_f64 v[173:174], v[58:59], s[30:31], v[100:101]
	v_mul_f64_e32 v[116:117], s[20:21], v[30:31]
	v_fma_f64 v[100:101], v[58:59], s[30:31], -v[100:101]
	v_fma_f64 v[179:180], v[16:17], s[36:37], v[102:103]
	v_mul_f64_e32 v[120:121], s[2:3], v[30:31]
	v_fma_f64 v[181:182], v[58:59], s[24:25], v[104:105]
	v_fma_f64 v[183:184], v[16:17], s[22:23], v[106:107]
	v_mul_f64_e32 v[30:31], s[28:29], v[30:31]
	v_fma_f64 v[104:105], v[58:59], s[24:25], -v[104:105]
	v_fma_f64 v[102:103], v[16:17], s[40:41], v[102:103]
	v_add_f64_e32 v[14:15], v[28:29], v[14:15]
	v_add_f64_e32 v[12:13], v[12:13], v[38:39]
	v_mul_f64_e32 v[28:29], s[24:25], v[74:75]
	v_fma_f64 v[38:39], v[56:57], s[10:11], v[80:81]
	v_fma_f64 v[74:75], v[34:35], s[14:15], v[82:83]
	v_fma_f64 v[80:81], v[56:57], s[10:11], -v[80:81]
	v_fma_f64 v[82:83], v[34:35], s[2:3], v[82:83]
	v_fma_f64 v[34:35], v[58:59], s[18:19], v[96:97]
	;; [unrolled: 1-line block ×3, first 2 shown]
	v_fma_f64 v[96:97], v[58:59], s[18:19], -v[96:97]
	v_fma_f64 v[98:99], v[16:17], s[16:17], v[98:99]
	v_fma_f64 v[175:176], v[16:17], s[34:35], v[32:33]
	v_add_f64_e32 v[156:157], v[0:1], v[156:157]
	v_add_f64_e32 v[158:159], v[2:3], v[158:159]
	v_fma_f64 v[177:178], v[58:59], s[38:39], v[36:37]
	v_add_f64_e32 v[84:85], v[0:1], v[84:85]
	v_add_f64_e32 v[161:162], v[0:1], v[161:162]
	;; [unrolled: 1-line block ×3, first 2 shown]
	v_fma_f64 v[36:37], v[58:59], s[38:39], -v[36:37]
	v_add_f64_e32 v[88:89], v[0:1], v[88:89]
	v_add_f64_e32 v[165:166], v[0:1], v[165:166]
	;; [unrolled: 1-line block ×6, first 2 shown]
	v_fma_f64 v[32:33], v[16:17], s[28:29], v[32:33]
	v_add_f64_e32 v[18:19], v[2:3], v[18:19]
	v_add_f64_e32 v[90:91], v[2:3], v[90:91]
	v_add_f64_e32 v[86:87], v[2:3], v[86:87]
	v_fma_f64 v[185:186], v[60:61], s[38:39], v[112:113]
	v_fma_f64 v[187:188], v[62:63], s[36:37], v[114:115]
	;; [unrolled: 1-line block ×4, first 2 shown]
	v_fma_f64 v[116:117], v[60:61], s[18:19], -v[116:117]
	v_mul_f64_e32 v[66:67], s[18:19], v[66:67]
	v_fma_f64 v[118:119], v[62:63], s[20:21], v[118:119]
	v_fma_f64 v[112:113], v[60:61], s[38:39], -v[112:113]
	v_fma_f64 v[114:115], v[62:63], s[40:41], v[114:115]
	v_add_f64_e32 v[14:15], v[14:15], v[44:45]
	v_add_f64_e32 v[12:13], v[12:13], v[46:47]
	v_fma_f64 v[44:45], v[16:17], s[26:27], v[106:107]
	v_add_f64_e32 v[38:39], v[0:1], v[38:39]
	v_fma_f64 v[46:47], v[58:59], s[10:11], v[50:51]
	v_add_f64_e32 v[80:81], v[0:1], v[80:81]
	v_add_f64_e32 v[82:83], v[2:3], v[82:83]
	v_fma_f64 v[106:107], v[16:17], s[2:3], v[52:53]
	v_fma_f64 v[50:51], v[58:59], s[10:11], -v[50:51]
	v_fma_f64 v[16:17], v[16:17], s[14:15], v[52:53]
	v_add_f64_e32 v[0:1], v[0:1], v[48:49]
	v_add_f64_e32 v[48:49], v[2:3], v[94:95]
	;; [unrolled: 1-line block ×3, first 2 shown]
	v_fma_f64 v[52:53], v[60:61], s[24:25], v[108:109]
	v_fma_f64 v[58:59], v[62:63], s[26:27], v[110:111]
	v_fma_f64 v[108:109], v[60:61], s[24:25], -v[108:109]
	v_fma_f64 v[110:111], v[62:63], s[22:23], v[110:111]
	v_add_f64_e32 v[84:85], v[100:101], v[84:85]
	v_add_f64_e32 v[100:101], v[179:180], v[163:164]
	;; [unrolled: 1-line block ×4, first 2 shown]
	v_fma_f64 v[74:75], v[60:61], s[10:11], -v[120:121]
	v_fma_f64 v[94:95], v[62:63], s[2:3], v[122:123]
	v_add_f64_e32 v[92:93], v[104:105], v[92:93]
	v_mul_f64_e32 v[140:141], s[36:37], v[78:79]
	v_mul_f64_e32 v[144:145], s[14:15], v[78:79]
	v_fma_f64 v[193:194], v[64:65], s[24:25], v[128:129]
	v_fma_f64 v[195:196], v[70:71], s[22:23], v[130:131]
	v_add_f64_e32 v[32:33], v[32:33], v[86:87]
	v_mul_f64_e32 v[148:149], s[28:29], v[78:79]
	v_mul_f64_e32 v[152:153], s[20:21], v[78:79]
	v_fma_f64 v[86:87], v[70:71], s[40:41], v[138:139]
	v_mul_f64_e32 v[78:79], s[22:23], v[78:79]
	v_fma_f64 v[128:129], v[64:65], s[24:25], -v[128:129]
	v_fma_f64 v[130:131], v[70:71], s[26:27], v[130:131]
	v_add_f64_e32 v[14:15], v[14:15], v[24:25]
	v_add_f64_e32 v[12:13], v[12:13], v[26:27]
	v_fma_f64 v[24:25], v[60:61], s[10:11], v[120:121]
	v_add_f64_e32 v[34:35], v[34:35], v[38:39]
	v_fma_f64 v[26:27], v[62:63], s[14:15], v[122:123]
	v_add_f64_e32 v[38:39], v[96:97], v[80:81]
	v_add_f64_e32 v[80:81], v[98:99], v[82:83]
	;; [unrolled: 1-line block ×6, first 2 shown]
	v_fma_f64 v[120:121], v[60:61], s[30:31], v[30:31]
	v_fma_f64 v[122:123], v[62:63], s[34:35], v[54:55]
	v_add_f64_e32 v[46:47], v[46:47], v[169:170]
	v_add_f64_e32 v[104:105], v[106:107], v[171:172]
	v_fma_f64 v[30:31], v[60:61], s[30:31], -v[30:31]
	v_fma_f64 v[54:55], v[62:63], s[28:29], v[54:55]
	v_add_f64_e32 v[0:1], v[50:51], v[0:1]
	v_add_f64_e32 v[16:17], v[16:17], v[18:19]
	;; [unrolled: 1-line block ×5, first 2 shown]
	v_fma_f64 v[60:61], v[64:65], s[30:31], v[124:125]
	v_fma_f64 v[62:63], v[70:71], s[34:35], v[126:127]
	v_fma_f64 v[124:125], v[64:65], s[30:31], -v[124:125]
	v_fma_f64 v[126:127], v[70:71], s[28:29], v[126:127]
	v_fma_f64 v[48:49], v[64:65], s[10:11], -v[132:133]
	v_fma_f64 v[56:57], v[64:65], s[38:39], v[136:137]
	v_add_f64_e32 v[36:37], v[116:117], v[36:37]
	v_fma_f64 v[106:107], v[64:65], s[18:19], v[68:69]
	v_fma_f64 v[90:91], v[64:65], s[38:39], -v[136:137]
	v_fma_f64 v[102:103], v[70:71], s[36:37], v[138:139]
	v_add_f64_e32 v[74:75], v[74:75], v[92:93]
	v_fma_f64 v[50:51], v[70:71], s[2:3], v[134:135]
	v_add_f64_e32 v[84:85], v[112:113], v[84:85]
	v_add_f64_e32 v[32:33], v[114:115], v[32:33]
	v_fma_f64 v[136:137], v[76:77], s[36:37], v[142:143]
	v_fma_f64 v[112:113], v[76:77], s[16:17], v[154:155]
	v_add_f64_e32 v[14:15], v[14:15], v[40:41]
	v_add_f64_e32 v[12:13], v[12:13], v[42:43]
	v_fma_f64 v[40:41], v[64:65], s[10:11], v[132:133]
	v_add_f64_e32 v[34:35], v[52:53], v[34:35]
	v_fma_f64 v[42:43], v[70:71], s[14:15], v[134:135]
	v_add_f64_e32 v[38:39], v[108:109], v[38:39]
	v_add_f64_e32 v[52:53], v[110:111], v[80:81]
	;; [unrolled: 1-line block ×8, first 2 shown]
	v_fma_f64 v[132:133], v[70:71], s[16:17], v[66:67]
	v_add_f64_e32 v[46:47], v[120:121], v[46:47]
	v_add_f64_e32 v[88:89], v[122:123], v[104:105]
	v_fma_f64 v[64:65], v[64:65], s[18:19], -v[68:69]
	v_fma_f64 v[66:67], v[70:71], s[20:21], v[66:67]
	v_add_f64_e32 v[0:1], v[30:31], v[0:1]
	v_add_f64_e32 v[16:17], v[54:55], v[16:17]
	;; [unrolled: 1-line block ×5, first 2 shown]
	v_fma_f64 v[68:69], v[72:73], s[38:39], v[140:141]
	v_fma_f64 v[134:135], v[72:73], s[38:39], -v[140:141]
	v_fma_f64 v[44:45], v[72:73], s[10:11], v[144:145]
	v_fma_f64 v[54:55], v[76:77], s[2:3], v[146:147]
	;; [unrolled: 1-line block ×7, first 2 shown]
	v_add_f64_e32 v[36:37], v[48:49], v[36:37]
	v_fma_f64 v[118:119], v[72:73], s[24:25], v[78:79]
	v_fma_f64 v[58:59], v[72:73], s[10:11], -v[144:145]
	v_fma_f64 v[104:105], v[72:73], s[30:31], -v[148:149]
	;; [unrolled: 1-line block ×4, first 2 shown]
	v_add_f64_e32 v[10:11], v[14:15], v[10:11]
	v_add_f64_e32 v[8:9], v[12:13], v[8:9]
	v_fma_f64 v[116:117], v[76:77], s[20:21], v[154:155]
	v_add_f64_e32 v[12:13], v[60:61], v[34:35]
	v_fma_f64 v[108:109], v[76:77], s[28:29], v[150:151]
	v_add_f64_e32 v[14:15], v[124:125], v[38:39]
	v_add_f64_e32 v[28:29], v[126:127], v[52:53]
	;; [unrolled: 1-line block ×11, first 2 shown]
	v_fma_f64 v[92:93], v[76:77], s[14:15], v[146:147]
	v_add_f64_e32 v[52:53], v[128:129], v[84:85]
	v_add_f64_e32 v[0:1], v[64:65], v[0:1]
	;; [unrolled: 1-line block ×6, first 2 shown]
	v_fma_f64 v[70:71], v[76:77], s[40:41], v[142:143]
	v_add_f64_e32 v[62:63], v[62:63], v[2:3]
	v_add_f64_e32 v[74:75], v[10:11], v[6:7]
	;; [unrolled: 1-line block ×25, first 2 shown]
	ds_store_b128 v250, v[28:31] offset:544
	ds_store_b128 v250, v[32:35] offset:816
	;; [unrolled: 1-line block ×9, first 2 shown]
	ds_store_b128 v250, v[20:23]
	ds_store_b128 v250, v[24:27] offset:272
	global_wb scope:SCOPE_SE
	s_wait_dscnt 0x0
	s_barrier_signal -1
	s_barrier_wait -1
	global_inv scope:SCOPE_SE
	ds_load_b128 v[20:23], v160
	ds_load_b128 v[24:27], v160 offset:2992
	ds_load_b128 v[28:31], v160 offset:5984
	;; [unrolled: 1-line block ×5, first 2 shown]
	s_and_saveexec_b32 s1, s0
	s_cbranch_execz .LBB0_19
; %bb.18:
	ds_load_b128 v[0:3], v160 offset:1632
	ds_load_b128 v[4:7], v160 offset:4624
	ds_load_b128 v[8:11], v160 offset:7616
	ds_load_b128 v[16:19], v160 offset:10608
	ds_load_b128 v[12:15], v160 offset:13600
	ds_load_b128 v[197:200], v160 offset:16592
.LBB0_19:
	s_wait_alu 0xfffe
	s_or_b32 exec_lo, exec_lo, s1
	s_clause 0x3
	scratch_load_b128 v[64:67], off, off offset:112 th:TH_LOAD_LU
	scratch_load_b128 v[70:73], off, off offset:144 th:TH_LOAD_LU
	;; [unrolled: 1-line block ×4, first 2 shown]
	s_mov_b32 s2, 0xe8584caa
	s_mov_b32 s3, 0xbfebb67a
	;; [unrolled: 1-line block ×3, first 2 shown]
	s_wait_alu 0xfffe
	s_mov_b32 s10, s2
	s_wait_loadcnt_dscnt 0x304
	v_mul_f64_e32 v[40:41], v[66:67], v[24:25]
	v_mul_f64_e32 v[46:47], v[66:67], v[26:27]
	scratch_load_b128 v[66:69], off, off offset:128 th:TH_LOAD_LU ; 16-byte Folded Reload
	s_wait_loadcnt_dscnt 0x202
	v_mul_f64_e32 v[36:37], v[58:59], v[76:77]
	s_wait_loadcnt_dscnt 0x100
	v_mul_f64_e32 v[38:39], v[62:63], v[80:81]
	v_mul_f64_e32 v[42:43], v[58:59], v[78:79]
	;; [unrolled: 1-line block ×5, first 2 shown]
	v_fma_f64 v[26:27], v[64:65], v[26:27], -v[40:41]
	v_fma_f64 v[24:25], v[64:65], v[24:25], v[46:47]
	v_fma_f64 v[36:37], v[56:57], v[78:79], -v[36:37]
	v_fma_f64 v[38:39], v[60:61], v[82:83], -v[38:39]
	v_fma_f64 v[42:43], v[56:57], v[76:77], v[42:43]
	v_fma_f64 v[44:45], v[60:61], v[80:81], v[44:45]
	v_fma_f64 v[28:29], v[70:71], v[28:29], v[48:49]
	v_fma_f64 v[30:31], v[70:71], v[30:31], -v[50:51]
	v_add_f64_e32 v[40:41], v[36:37], v[38:39]
	s_delay_alu instid0(VALU_DEP_4) | instskip(SKIP_1) | instid1(VALU_DEP_3)
	v_add_f64_e32 v[46:47], v[42:43], v[44:45]
	v_add_f64_e64 v[48:49], v[42:43], -v[44:45]
	v_fma_f64 v[40:41], v[40:41], -0.5, v[26:27]
	v_add_f64_e32 v[26:27], v[26:27], v[36:37]
	s_delay_alu instid0(VALU_DEP_4) | instskip(SKIP_2) | instid1(VALU_DEP_4)
	v_fma_f64 v[46:47], v[46:47], -0.5, v[24:25]
	v_add_f64_e32 v[24:25], v[24:25], v[42:43]
	s_wait_alu 0xfffe
	v_fma_f64 v[56:57], v[48:49], s[10:11], v[40:41]
	v_fma_f64 v[40:41], v[48:49], s[2:3], v[40:41]
	v_add_f64_e32 v[48:49], v[20:21], v[28:29]
	s_delay_alu instid0(VALU_DEP_4) | instskip(SKIP_4) | instid1(VALU_DEP_2)
	v_add_f64_e32 v[24:25], v[24:25], v[44:45]
	v_add_f64_e32 v[26:27], v[26:27], v[38:39]
	s_wait_loadcnt 0x0
	v_mul_f64_e32 v[52:53], v[68:69], v[34:35]
	v_mul_f64_e32 v[54:55], v[68:69], v[32:33]
	v_fma_f64 v[32:33], v[66:67], v[32:33], v[52:53]
	s_delay_alu instid0(VALU_DEP_2) | instskip(SKIP_1) | instid1(VALU_DEP_3)
	v_fma_f64 v[34:35], v[66:67], v[34:35], -v[54:55]
	v_add_f64_e64 v[54:55], v[36:37], -v[38:39]
	v_add_f64_e32 v[50:51], v[28:29], v[32:33]
	s_delay_alu instid0(VALU_DEP_3)
	v_add_f64_e32 v[52:53], v[30:31], v[34:35]
	v_add_f64_e64 v[58:59], v[30:31], -v[34:35]
	v_add_f64_e32 v[30:31], v[22:23], v[30:31]
	v_add_f64_e64 v[28:29], v[28:29], -v[32:33]
	v_fma_f64 v[36:37], v[54:55], s[2:3], v[46:47]
	v_fma_f64 v[42:43], v[54:55], s[10:11], v[46:47]
	v_mul_f64_e32 v[46:47], s[2:3], v[56:57]
	v_add_f64_e32 v[32:33], v[48:49], v[32:33]
	v_fma_f64 v[20:21], v[50:51], -0.5, v[20:21]
	v_fma_f64 v[22:23], v[52:53], -0.5, v[22:23]
	v_mul_f64_e32 v[52:53], 0.5, v[56:57]
	v_mul_f64_e32 v[50:51], s[2:3], v[40:41]
	v_mul_f64_e32 v[40:41], -0.5, v[40:41]
	v_add_f64_e32 v[30:31], v[30:31], v[34:35]
	v_fma_f64 v[46:47], v[36:37], 0.5, v[46:47]
	v_fma_f64 v[38:39], v[58:59], s[2:3], v[20:21]
	v_fma_f64 v[48:49], v[28:29], s[10:11], v[22:23]
	;; [unrolled: 1-line block ×5, first 2 shown]
	v_fma_f64 v[50:51], v[42:43], -0.5, v[50:51]
	v_fma_f64 v[40:41], v[42:43], s[10:11], v[40:41]
	v_add_f64_e32 v[20:21], v[32:33], v[24:25]
	v_add_f64_e32 v[22:23], v[30:31], v[26:27]
	v_add_f64_e64 v[26:27], v[30:31], -v[26:27]
	v_add_f64_e64 v[24:25], v[32:33], -v[24:25]
	v_add_f64_e32 v[28:29], v[38:39], v[46:47]
	v_add_f64_e64 v[56:57], v[38:39], -v[46:47]
	v_add_f64_e32 v[30:31], v[48:49], v[36:37]
	;; [unrolled: 2-line block ×3, first 2 shown]
	v_add_f64_e32 v[34:35], v[54:55], v[40:41]
	v_add_f64_e64 v[60:61], v[44:45], -v[50:51]
	v_add_f64_e64 v[62:63], v[54:55], -v[40:41]
	ds_store_b128 v249, v[20:23]
	ds_store_b128 v249, v[28:31] offset:2992
	ds_store_b128 v249, v[32:35] offset:5984
	;; [unrolled: 1-line block ×5, first 2 shown]
	s_and_saveexec_b32 s1, s0
	s_cbranch_execz .LBB0_21
; %bb.20:
	s_clause 0x1
	scratch_load_b128 v[42:45], off, off offset:176 th:TH_LOAD_LU
	scratch_load_b128 v[38:41], off, off offset:160 th:TH_LOAD_LU
	v_mul_f64_e32 v[20:21], v[225:226], v[16:17]
	v_mul_f64_e32 v[24:25], v[225:226], v[18:19]
	;; [unrolled: 1-line block ×6, first 2 shown]
	v_fma_f64 v[18:19], v[223:224], v[18:19], -v[20:21]
	v_fma_f64 v[16:17], v[223:224], v[16:17], v[24:25]
	v_fma_f64 v[6:7], v[227:228], v[6:7], -v[28:29]
	v_fma_f64 v[14:15], v[231:232], v[14:15], -v[30:31]
	v_fma_f64 v[12:13], v[231:232], v[12:13], v[34:35]
	v_fma_f64 v[4:5], v[227:228], v[4:5], v[36:37]
	s_wait_loadcnt 0x1
	v_mul_f64_e32 v[22:23], v[44:45], v[197:198]
	v_mul_f64_e32 v[26:27], v[44:45], v[199:200]
	s_wait_loadcnt 0x0
	v_mul_f64_e32 v[32:33], v[40:41], v[10:11]
	s_delay_alu instid0(VALU_DEP_3) | instskip(SKIP_1) | instid1(VALU_DEP_4)
	v_fma_f64 v[20:21], v[42:43], v[199:200], -v[22:23]
	v_mul_f64_e32 v[22:23], v[40:41], v[8:9]
	v_fma_f64 v[24:25], v[42:43], v[197:198], v[26:27]
	s_delay_alu instid0(VALU_DEP_4) | instskip(NEXT) | instid1(VALU_DEP_4)
	v_fma_f64 v[8:9], v[38:39], v[8:9], v[32:33]
	v_add_f64_e32 v[26:27], v[18:19], v[20:21]
	s_delay_alu instid0(VALU_DEP_4) | instskip(NEXT) | instid1(VALU_DEP_4)
	v_fma_f64 v[10:11], v[38:39], v[10:11], -v[22:23]
	v_add_f64_e32 v[22:23], v[16:17], v[24:25]
	v_add_f64_e64 v[28:29], v[16:17], -v[24:25]
	v_add_f64_e64 v[32:33], v[18:19], -v[20:21]
	v_add_f64_e32 v[34:35], v[8:9], v[12:13]
	v_fma_f64 v[26:27], v[26:27], -0.5, v[6:7]
	v_add_f64_e32 v[30:31], v[10:11], v[14:15]
	v_fma_f64 v[22:23], v[22:23], -0.5, v[4:5]
	v_add_f64_e32 v[38:39], v[2:3], v[10:11]
	v_add_f64_e32 v[6:7], v[6:7], v[18:19]
	;; [unrolled: 1-line block ×3, first 2 shown]
	v_add_f64_e64 v[10:11], v[10:11], -v[14:15]
	v_fma_f64 v[36:37], v[28:29], s[2:3], v[26:27]
	v_fma_f64 v[26:27], v[28:29], s[10:11], v[26:27]
	v_add_f64_e64 v[28:29], v[8:9], -v[12:13]
	v_add_f64_e32 v[8:9], v[0:1], v[8:9]
	v_fma_f64 v[2:3], v[30:31], -0.5, v[2:3]
	v_fma_f64 v[0:1], v[34:35], -0.5, v[0:1]
	v_fma_f64 v[16:17], v[32:33], s[10:11], v[22:23]
	v_fma_f64 v[22:23], v[32:33], s[2:3], v[22:23]
	v_add_f64_e32 v[14:15], v[38:39], v[14:15]
	v_add_f64_e32 v[6:7], v[6:7], v[20:21]
	;; [unrolled: 1-line block ×3, first 2 shown]
	v_mul_f64_e32 v[18:19], -0.5, v[36:37]
	v_mul_f64_e32 v[30:31], 0.5, v[26:27]
	v_mul_f64_e32 v[26:27], s[2:3], v[26:27]
	v_mul_f64_e32 v[32:33], s[2:3], v[36:37]
	v_add_f64_e32 v[8:9], v[8:9], v[12:13]
	v_fma_f64 v[12:13], v[28:29], s[2:3], v[2:3]
	v_fma_f64 v[20:21], v[28:29], s[10:11], v[2:3]
	;; [unrolled: 1-line block ×4, first 2 shown]
	v_add_f64_e64 v[2:3], v[14:15], -v[6:7]
	v_add_f64_e32 v[6:7], v[14:15], v[6:7]
	v_fma_f64 v[18:19], v[16:17], s[10:11], v[18:19]
	v_fma_f64 v[30:31], v[22:23], s[10:11], v[30:31]
	v_fma_f64 v[26:27], v[22:23], 0.5, v[26:27]
	v_fma_f64 v[32:33], v[16:17], -0.5, v[32:33]
	v_add_f64_e64 v[0:1], v[8:9], -v[4:5]
	v_add_f64_e32 v[4:5], v[8:9], v[4:5]
	v_add_f64_e64 v[10:11], v[12:13], -v[18:19]
	v_add_f64_e32 v[14:15], v[12:13], v[18:19]
	v_add_f64_e32 v[18:19], v[20:21], v[30:31]
	v_add_f64_e32 v[16:17], v[28:29], v[26:27]
	v_add_f64_e32 v[12:13], v[24:25], v[32:33]
	v_add_f64_e64 v[22:23], v[20:21], -v[30:31]
	v_add_f64_e64 v[20:21], v[28:29], -v[26:27]
	;; [unrolled: 1-line block ×3, first 2 shown]
	ds_store_b128 v249, v[4:7] offset:1632
	ds_store_b128 v249, v[16:19] offset:4624
	;; [unrolled: 1-line block ×6, first 2 shown]
.LBB0_21:
	s_wait_alu 0xfffe
	s_or_b32 exec_lo, exec_lo, s1
	global_wb scope:SCOPE_SE
	s_wait_dscnt 0x0
	s_barrier_signal -1
	s_barrier_wait -1
	global_inv scope:SCOPE_SE
	s_and_b32 exec_lo, exec_lo, vcc_lo
	s_cbranch_execz .LBB0_23
; %bb.22:
	global_load_b128 v[0:3], v255, s[8:9]
	ds_load_b128 v[4:7], v249
	ds_load_b128 v[8:11], v249 offset:1056
	s_mov_b32 s0, 0x4bc01d34
	s_mov_b32 s1, 0x3f4d347a
	s_mul_u64 s[2:3], s[4:5], 0x420
	scratch_load_b32 v15, off, off th:TH_LOAD_LU ; 4-byte Folded Reload
	s_wait_loadcnt_dscnt 0x101
	v_mul_f64_e32 v[12:13], v[6:7], v[2:3]
	v_mul_f64_e32 v[2:3], v[4:5], v[2:3]
	s_delay_alu instid0(VALU_DEP_2) | instskip(NEXT) | instid1(VALU_DEP_2)
	v_fma_f64 v[4:5], v[4:5], v[0:1], v[12:13]
	v_fma_f64 v[2:3], v[0:1], v[6:7], -v[2:3]
	scratch_load_b64 v[0:1], off, off offset:4 th:TH_LOAD_LU ; 8-byte Folded Reload
	s_wait_loadcnt 0x1
	v_mad_co_u64_u32 v[12:13], null, s4, v15, 0
	s_wait_alu 0xfffe
	v_mul_f64_e32 v[2:3], s[0:1], v[2:3]
	s_wait_loadcnt 0x0
	v_mov_b32_e32 v14, v0
	v_mul_f64_e32 v[0:1], s[0:1], v[4:5]
	s_delay_alu instid0(VALU_DEP_4) | instskip(NEXT) | instid1(VALU_DEP_3)
	v_mov_b32_e32 v5, v13
	v_mad_co_u64_u32 v[6:7], null, s6, v14, 0
	s_delay_alu instid0(VALU_DEP_1) | instskip(NEXT) | instid1(VALU_DEP_1)
	v_mov_b32_e32 v4, v7
	v_mad_co_u64_u32 v[13:14], null, s7, v14, v[4:5]
	s_delay_alu instid0(VALU_DEP_3) | instskip(NEXT) | instid1(VALU_DEP_2)
	v_mad_co_u64_u32 v[4:5], null, s5, v15, v[5:6]
	v_mov_b32_e32 v7, v13
	s_delay_alu instid0(VALU_DEP_2) | instskip(NEXT) | instid1(VALU_DEP_2)
	v_mov_b32_e32 v13, v4
	v_lshlrev_b64_e32 v[4:5], 4, v[6:7]
	s_delay_alu instid0(VALU_DEP_2) | instskip(NEXT) | instid1(VALU_DEP_2)
	v_lshlrev_b64_e32 v[6:7], 4, v[12:13]
	v_add_co_u32 v4, vcc_lo, s12, v4
	s_wait_alu 0xfffd
	s_delay_alu instid0(VALU_DEP_3) | instskip(NEXT) | instid1(VALU_DEP_2)
	v_add_co_ci_u32_e32 v5, vcc_lo, s13, v5, vcc_lo
	v_add_co_u32 v4, vcc_lo, v4, v6
	s_wait_alu 0xfffd
	s_delay_alu instid0(VALU_DEP_2) | instskip(NEXT) | instid1(VALU_DEP_2)
	v_add_co_ci_u32_e32 v5, vcc_lo, v5, v7, vcc_lo
	v_add_co_u32 v12, vcc_lo, v4, s2
	global_store_b128 v[4:5], v[0:3], off
	s_wait_alu 0xfffd
	v_add_co_ci_u32_e32 v13, vcc_lo, s3, v5, vcc_lo
	global_load_b128 v[0:3], v255, s[8:9] offset:1056
	s_wait_loadcnt_dscnt 0x0
	v_mul_f64_e32 v[6:7], v[10:11], v[2:3]
	v_mul_f64_e32 v[2:3], v[8:9], v[2:3]
	s_delay_alu instid0(VALU_DEP_2) | instskip(NEXT) | instid1(VALU_DEP_2)
	v_fma_f64 v[6:7], v[8:9], v[0:1], v[6:7]
	v_fma_f64 v[2:3], v[0:1], v[10:11], -v[2:3]
	s_delay_alu instid0(VALU_DEP_2) | instskip(NEXT) | instid1(VALU_DEP_2)
	v_mul_f64_e32 v[0:1], s[0:1], v[6:7]
	v_mul_f64_e32 v[2:3], s[0:1], v[2:3]
	global_store_b128 v[12:13], v[0:3], off
	global_load_b128 v[0:3], v255, s[8:9] offset:2112
	ds_load_b128 v[4:7], v249 offset:2112
	ds_load_b128 v[8:11], v249 offset:3168
	s_wait_loadcnt_dscnt 0x1
	v_mul_f64_e32 v[14:15], v[6:7], v[2:3]
	v_mul_f64_e32 v[2:3], v[4:5], v[2:3]
	s_delay_alu instid0(VALU_DEP_2) | instskip(NEXT) | instid1(VALU_DEP_2)
	v_fma_f64 v[4:5], v[4:5], v[0:1], v[14:15]
	v_fma_f64 v[2:3], v[0:1], v[6:7], -v[2:3]
	s_delay_alu instid0(VALU_DEP_2) | instskip(NEXT) | instid1(VALU_DEP_2)
	v_mul_f64_e32 v[0:1], s[0:1], v[4:5]
	v_mul_f64_e32 v[2:3], s[0:1], v[2:3]
	v_add_co_u32 v4, vcc_lo, v12, s2
	s_wait_alu 0xfffd
	v_add_co_ci_u32_e32 v5, vcc_lo, s3, v13, vcc_lo
	s_delay_alu instid0(VALU_DEP_2) | instskip(SKIP_1) | instid1(VALU_DEP_2)
	v_add_co_u32 v12, vcc_lo, v4, s2
	s_wait_alu 0xfffd
	v_add_co_ci_u32_e32 v13, vcc_lo, s3, v5, vcc_lo
	global_store_b128 v[4:5], v[0:3], off
	global_load_b128 v[0:3], v255, s[8:9] offset:3168
	s_wait_loadcnt_dscnt 0x0
	v_mul_f64_e32 v[6:7], v[10:11], v[2:3]
	v_mul_f64_e32 v[2:3], v[8:9], v[2:3]
	s_delay_alu instid0(VALU_DEP_2) | instskip(NEXT) | instid1(VALU_DEP_2)
	v_fma_f64 v[6:7], v[8:9], v[0:1], v[6:7]
	v_fma_f64 v[2:3], v[0:1], v[10:11], -v[2:3]
	s_delay_alu instid0(VALU_DEP_2) | instskip(NEXT) | instid1(VALU_DEP_2)
	v_mul_f64_e32 v[0:1], s[0:1], v[6:7]
	v_mul_f64_e32 v[2:3], s[0:1], v[2:3]
	global_store_b128 v[12:13], v[0:3], off
	global_load_b128 v[0:3], v255, s[8:9] offset:4224
	ds_load_b128 v[4:7], v249 offset:4224
	ds_load_b128 v[8:11], v249 offset:5280
	s_wait_loadcnt_dscnt 0x1
	v_mul_f64_e32 v[14:15], v[6:7], v[2:3]
	v_mul_f64_e32 v[2:3], v[4:5], v[2:3]
	s_delay_alu instid0(VALU_DEP_2) | instskip(NEXT) | instid1(VALU_DEP_2)
	v_fma_f64 v[4:5], v[4:5], v[0:1], v[14:15]
	v_fma_f64 v[2:3], v[0:1], v[6:7], -v[2:3]
	s_delay_alu instid0(VALU_DEP_2) | instskip(NEXT) | instid1(VALU_DEP_2)
	v_mul_f64_e32 v[0:1], s[0:1], v[4:5]
	v_mul_f64_e32 v[2:3], s[0:1], v[2:3]
	v_add_co_u32 v4, vcc_lo, v12, s2
	s_wait_alu 0xfffd
	v_add_co_ci_u32_e32 v5, vcc_lo, s3, v13, vcc_lo
	s_delay_alu instid0(VALU_DEP_2) | instskip(SKIP_1) | instid1(VALU_DEP_2)
	v_add_co_u32 v12, vcc_lo, v4, s2
	s_wait_alu 0xfffd
	v_add_co_ci_u32_e32 v13, vcc_lo, s3, v5, vcc_lo
	global_store_b128 v[4:5], v[0:3], off
	;; [unrolled: 31-line block ×6, first 2 shown]
	global_load_b128 v[0:3], v255, s[8:9] offset:13728
	s_wait_loadcnt_dscnt 0x0
	v_mul_f64_e32 v[6:7], v[10:11], v[2:3]
	v_mul_f64_e32 v[2:3], v[8:9], v[2:3]
	s_delay_alu instid0(VALU_DEP_2) | instskip(NEXT) | instid1(VALU_DEP_2)
	v_fma_f64 v[6:7], v[8:9], v[0:1], v[6:7]
	v_fma_f64 v[2:3], v[0:1], v[10:11], -v[2:3]
	s_delay_alu instid0(VALU_DEP_2) | instskip(NEXT) | instid1(VALU_DEP_2)
	v_mul_f64_e32 v[0:1], s[0:1], v[6:7]
	v_mul_f64_e32 v[2:3], s[0:1], v[2:3]
	global_store_b128 v[12:13], v[0:3], off
	global_load_b128 v[0:3], v255, s[8:9] offset:14784
	ds_load_b128 v[4:7], v249 offset:14784
	ds_load_b128 v[8:11], v249 offset:15840
	s_wait_loadcnt_dscnt 0x1
	v_mul_f64_e32 v[14:15], v[6:7], v[2:3]
	v_mul_f64_e32 v[2:3], v[4:5], v[2:3]
	s_delay_alu instid0(VALU_DEP_2) | instskip(NEXT) | instid1(VALU_DEP_2)
	v_fma_f64 v[4:5], v[4:5], v[0:1], v[14:15]
	v_fma_f64 v[2:3], v[0:1], v[6:7], -v[2:3]
	s_delay_alu instid0(VALU_DEP_2) | instskip(NEXT) | instid1(VALU_DEP_2)
	v_mul_f64_e32 v[0:1], s[0:1], v[4:5]
	v_mul_f64_e32 v[2:3], s[0:1], v[2:3]
	v_add_co_u32 v4, vcc_lo, v12, s2
	s_wait_alu 0xfffd
	v_add_co_ci_u32_e32 v5, vcc_lo, s3, v13, vcc_lo
	global_store_b128 v[4:5], v[0:3], off
	global_load_b128 v[0:3], v255, s[8:9] offset:15840
	s_wait_loadcnt_dscnt 0x0
	v_mul_f64_e32 v[6:7], v[10:11], v[2:3]
	v_mul_f64_e32 v[2:3], v[8:9], v[2:3]
	s_delay_alu instid0(VALU_DEP_2) | instskip(NEXT) | instid1(VALU_DEP_2)
	v_fma_f64 v[6:7], v[8:9], v[0:1], v[6:7]
	v_fma_f64 v[2:3], v[0:1], v[10:11], -v[2:3]
	v_add_co_u32 v8, vcc_lo, v4, s2
	s_wait_alu 0xfffd
	v_add_co_ci_u32_e32 v9, vcc_lo, s3, v5, vcc_lo
	s_delay_alu instid0(VALU_DEP_4) | instskip(NEXT) | instid1(VALU_DEP_4)
	v_mul_f64_e32 v[0:1], s[0:1], v[6:7]
	v_mul_f64_e32 v[2:3], s[0:1], v[2:3]
	ds_load_b128 v[4:7], v249 offset:16896
	global_store_b128 v[8:9], v[0:3], off
	global_load_b128 v[0:3], v255, s[8:9] offset:16896
	s_wait_loadcnt_dscnt 0x0
	v_mul_f64_e32 v[10:11], v[6:7], v[2:3]
	v_mul_f64_e32 v[2:3], v[4:5], v[2:3]
	s_delay_alu instid0(VALU_DEP_2) | instskip(NEXT) | instid1(VALU_DEP_2)
	v_fma_f64 v[4:5], v[4:5], v[0:1], v[10:11]
	v_fma_f64 v[2:3], v[0:1], v[6:7], -v[2:3]
	s_delay_alu instid0(VALU_DEP_2) | instskip(NEXT) | instid1(VALU_DEP_2)
	v_mul_f64_e32 v[0:1], s[0:1], v[4:5]
	v_mul_f64_e32 v[2:3], s[0:1], v[2:3]
	v_add_co_u32 v4, vcc_lo, v8, s2
	s_wait_alu 0xfffd
	v_add_co_ci_u32_e32 v5, vcc_lo, s3, v9, vcc_lo
	global_store_b128 v[4:5], v[0:3], off
.LBB0_23:
	s_endpgm
	.section	.rodata,"a",@progbits
	.p2align	6, 0x0
	.amdhsa_kernel bluestein_single_fwd_len1122_dim1_dp_op_CI_CI
		.amdhsa_group_segment_fixed_size 35904
		.amdhsa_private_segment_fixed_size 524
		.amdhsa_kernarg_size 104
		.amdhsa_user_sgpr_count 2
		.amdhsa_user_sgpr_dispatch_ptr 0
		.amdhsa_user_sgpr_queue_ptr 0
		.amdhsa_user_sgpr_kernarg_segment_ptr 1
		.amdhsa_user_sgpr_dispatch_id 0
		.amdhsa_user_sgpr_private_segment_size 0
		.amdhsa_wavefront_size32 1
		.amdhsa_uses_dynamic_stack 0
		.amdhsa_enable_private_segment 1
		.amdhsa_system_sgpr_workgroup_id_x 1
		.amdhsa_system_sgpr_workgroup_id_y 0
		.amdhsa_system_sgpr_workgroup_id_z 0
		.amdhsa_system_sgpr_workgroup_info 0
		.amdhsa_system_vgpr_workitem_id 0
		.amdhsa_next_free_vgpr 256
		.amdhsa_next_free_sgpr 58
		.amdhsa_reserve_vcc 1
		.amdhsa_float_round_mode_32 0
		.amdhsa_float_round_mode_16_64 0
		.amdhsa_float_denorm_mode_32 3
		.amdhsa_float_denorm_mode_16_64 3
		.amdhsa_fp16_overflow 0
		.amdhsa_workgroup_processor_mode 1
		.amdhsa_memory_ordered 1
		.amdhsa_forward_progress 0
		.amdhsa_round_robin_scheduling 0
		.amdhsa_exception_fp_ieee_invalid_op 0
		.amdhsa_exception_fp_denorm_src 0
		.amdhsa_exception_fp_ieee_div_zero 0
		.amdhsa_exception_fp_ieee_overflow 0
		.amdhsa_exception_fp_ieee_underflow 0
		.amdhsa_exception_fp_ieee_inexact 0
		.amdhsa_exception_int_div_zero 0
	.end_amdhsa_kernel
	.text
.Lfunc_end0:
	.size	bluestein_single_fwd_len1122_dim1_dp_op_CI_CI, .Lfunc_end0-bluestein_single_fwd_len1122_dim1_dp_op_CI_CI
                                        ; -- End function
	.section	.AMDGPU.csdata,"",@progbits
; Kernel info:
; codeLenInByte = 25052
; NumSgprs: 60
; NumVgprs: 256
; ScratchSize: 524
; MemoryBound: 0
; FloatMode: 240
; IeeeMode: 1
; LDSByteSize: 35904 bytes/workgroup (compile time only)
; SGPRBlocks: 7
; VGPRBlocks: 31
; NumSGPRsForWavesPerEU: 60
; NumVGPRsForWavesPerEU: 256
; Occupancy: 5
; WaveLimiterHint : 1
; COMPUTE_PGM_RSRC2:SCRATCH_EN: 1
; COMPUTE_PGM_RSRC2:USER_SGPR: 2
; COMPUTE_PGM_RSRC2:TRAP_HANDLER: 0
; COMPUTE_PGM_RSRC2:TGID_X_EN: 1
; COMPUTE_PGM_RSRC2:TGID_Y_EN: 0
; COMPUTE_PGM_RSRC2:TGID_Z_EN: 0
; COMPUTE_PGM_RSRC2:TIDIG_COMP_CNT: 0
	.text
	.p2alignl 7, 3214868480
	.fill 96, 4, 3214868480
	.type	__hip_cuid_cb78b98c4f16ed74,@object ; @__hip_cuid_cb78b98c4f16ed74
	.section	.bss,"aw",@nobits
	.globl	__hip_cuid_cb78b98c4f16ed74
__hip_cuid_cb78b98c4f16ed74:
	.byte	0                               ; 0x0
	.size	__hip_cuid_cb78b98c4f16ed74, 1

	.ident	"AMD clang version 19.0.0git (https://github.com/RadeonOpenCompute/llvm-project roc-6.4.0 25133 c7fe45cf4b819c5991fe208aaa96edf142730f1d)"
	.section	".note.GNU-stack","",@progbits
	.addrsig
	.addrsig_sym __hip_cuid_cb78b98c4f16ed74
	.amdgpu_metadata
---
amdhsa.kernels:
  - .args:
      - .actual_access:  read_only
        .address_space:  global
        .offset:         0
        .size:           8
        .value_kind:     global_buffer
      - .actual_access:  read_only
        .address_space:  global
        .offset:         8
        .size:           8
        .value_kind:     global_buffer
      - .actual_access:  read_only
        .address_space:  global
        .offset:         16
        .size:           8
        .value_kind:     global_buffer
      - .actual_access:  read_only
        .address_space:  global
        .offset:         24
        .size:           8
        .value_kind:     global_buffer
      - .actual_access:  read_only
        .address_space:  global
        .offset:         32
        .size:           8
        .value_kind:     global_buffer
      - .offset:         40
        .size:           8
        .value_kind:     by_value
      - .address_space:  global
        .offset:         48
        .size:           8
        .value_kind:     global_buffer
      - .address_space:  global
        .offset:         56
        .size:           8
        .value_kind:     global_buffer
      - .address_space:  global
        .offset:         64
        .size:           8
        .value_kind:     global_buffer
      - .address_space:  global
        .offset:         72
        .size:           8
        .value_kind:     global_buffer
      - .offset:         80
        .size:           4
        .value_kind:     by_value
      - .address_space:  global
        .offset:         88
        .size:           8
        .value_kind:     global_buffer
      - .address_space:  global
        .offset:         96
        .size:           8
        .value_kind:     global_buffer
    .group_segment_fixed_size: 35904
    .kernarg_segment_align: 8
    .kernarg_segment_size: 104
    .language:       OpenCL C
    .language_version:
      - 2
      - 0
    .max_flat_workgroup_size: 204
    .name:           bluestein_single_fwd_len1122_dim1_dp_op_CI_CI
    .private_segment_fixed_size: 524
    .sgpr_count:     60
    .sgpr_spill_count: 0
    .symbol:         bluestein_single_fwd_len1122_dim1_dp_op_CI_CI.kd
    .uniform_work_group_size: 1
    .uses_dynamic_stack: false
    .vgpr_count:     256
    .vgpr_spill_count: 176
    .wavefront_size: 32
    .workgroup_processor_mode: 1
amdhsa.target:   amdgcn-amd-amdhsa--gfx1201
amdhsa.version:
  - 1
  - 2
...

	.end_amdgpu_metadata
